;; amdgpu-corpus repo=ROCm/rocFFT kind=compiled arch=gfx950 opt=O3
	.text
	.amdgcn_target "amdgcn-amd-amdhsa--gfx950"
	.amdhsa_code_object_version 6
	.protected	fft_rtc_fwd_len289_factors_17_17_wgs_119_tpt_17_sp_op_CI_CI_sbrc_xy_z_aligned ; -- Begin function fft_rtc_fwd_len289_factors_17_17_wgs_119_tpt_17_sp_op_CI_CI_sbrc_xy_z_aligned
	.globl	fft_rtc_fwd_len289_factors_17_17_wgs_119_tpt_17_sp_op_CI_CI_sbrc_xy_z_aligned
	.p2align	8
	.type	fft_rtc_fwd_len289_factors_17_17_wgs_119_tpt_17_sp_op_CI_CI_sbrc_xy_z_aligned,@function
fft_rtc_fwd_len289_factors_17_17_wgs_119_tpt_17_sp_op_CI_CI_sbrc_xy_z_aligned: ; @fft_rtc_fwd_len289_factors_17_17_wgs_119_tpt_17_sp_op_CI_CI_sbrc_xy_z_aligned
; %bb.0:
	s_load_dwordx4 s[12:15], s[0:1], 0x10
	v_mov_b32_e32 v206, v0
	s_mov_b32 s3, 0
	s_waitcnt lgkmcnt(0)
	s_load_dwordx4 s[16:19], s[12:13], 0x8
	s_load_dwordx2 s[52:53], s[0:1], 0x0
	s_load_dwordx2 s[22:23], s[0:1], 0x58
	;; [unrolled: 1-line block ×3, first 2 shown]
	s_load_dwordx4 s[8:11], s[14:15], 0x0
	s_mov_b32 s13, s3
	s_waitcnt lgkmcnt(0)
	s_add_i32 s4, s18, -1
	s_mul_hi_u32 s5, s4, 0x24924925
	s_sub_i32 s4, s4, s5
	s_lshr_b32 s4, s4, 1
	s_add_i32 s4, s4, s5
	s_lshr_b32 s4, s4, 2
	s_add_i32 s4, s4, 1
	s_mul_i32 s12, s4, s16
	v_cvt_f32_u32_e32 v0, s12
	s_load_dwordx2 s[20:21], s[14:15], 0x10
	s_load_dwordx4 s[4:7], s[24:25], 0x0
	s_load_dwordx2 s[18:19], s[24:25], 0x10
	s_waitcnt lgkmcnt(0)
	s_sub_i32 s7, 0, s12
	v_cvt_f32_u32_e32 v1, s16
	v_rcp_iflag_f32_e32 v0, v0
	v_mov_b64_e32 v[2:3], s[16:17]
	v_mul_f32_e32 v0, 0x4f7ffffe, v0
	v_cvt_u32_f32_e32 v0, v0
	s_nop 0
	v_readfirstlane_b32 s11, v0
	s_mul_i32 s7, s7, s11
	s_mul_hi_u32 s7, s11, s7
	s_add_i32 s11, s11, s7
	s_mul_hi_u32 s7, s2, s11
	s_mul_i32 s11, s7, s12
	s_sub_i32 s11, s2, s11
	s_add_i32 s19, s7, 1
	s_sub_i32 s21, s11, s12
	s_cmp_ge_u32 s11, s12
	s_cselect_b32 s7, s19, s7
	s_cselect_b32 s11, s21, s11
	s_add_i32 s19, s7, 1
	s_cmp_ge_u32 s11, s12
	s_cselect_b32 s7, s19, s7
	s_mul_i32 s11, s7, s12
	s_sub_i32 s12, s2, s11
	v_cmp_lt_u64_e32 vcc, s[12:13], v[2:3]
	v_mov_b64_e32 v[2:3], 0
	s_cbranch_vccnz .LBB0_2
; %bb.1:
	v_rcp_iflag_f32_e32 v0, v1
	s_sub_i32 s11, 0, s16
	v_mul_f32_e32 v0, 0x4f7ffffe, v0
	v_cvt_u32_f32_e32 v0, v0
	v_mul_lo_u32 v2, s11, v0
	v_mul_hi_u32 v2, v0, v2
	v_add_u32_e32 v0, v0, v2
	v_mul_hi_u32 v0, s12, v0
	v_mul_lo_u32 v3, v0, s16
	v_sub_u32_e32 v3, s12, v3
	v_add_u32_e32 v2, 1, v0
	v_subrev_u32_e32 v4, s16, v3
	v_cmp_le_u32_e32 vcc, s16, v3
	s_nop 1
	v_cndmask_b32_e32 v3, v3, v4, vcc
	v_cndmask_b32_e32 v0, v0, v2, vcc
	v_add_u32_e32 v2, 1, v0
	v_cmp_le_u32_e32 vcc, s16, v3
	s_nop 1
	v_cndmask_b32_e32 v2, v0, v2, vcc
.LBB0_2:
	s_load_dwordx2 s[12:13], s[0:1], 0x60
	v_mov_b64_e32 v[4:5], s[16:17]
	v_cmp_lt_u64_e32 vcc, s[2:3], v[4:5]
	v_mov_b64_e32 v[4:5], s[2:3]
	s_cbranch_vccnz .LBB0_4
; %bb.3:
	v_rcp_iflag_f32_e32 v0, v1
	s_sub_i32 s3, 0, s16
	v_mul_f32_e32 v0, 0x4f7ffffe, v0
	v_cvt_u32_f32_e32 v0, v0
	v_mul_lo_u32 v1, s3, v0
	v_mul_hi_u32 v1, v0, v1
	v_add_u32_e32 v0, v0, v1
	v_mul_hi_u32 v0, s2, v0
	v_mul_lo_u32 v0, v0, s16
	v_sub_u32_e32 v0, s2, v0
	v_subrev_u32_e32 v1, s16, v0
	v_cmp_le_u32_e32 vcc, s16, v0
	s_nop 1
	v_cndmask_b32_e32 v0, v0, v1, vcc
	v_subrev_u32_e32 v1, s16, v0
	v_cmp_le_u32_e32 vcc, s16, v0
	s_nop 1
	v_cndmask_b32_e32 v4, v0, v1, vcc
.LBB0_4:
	s_load_dwordx2 s[0:1], s[0:1], 0x8
	v_mul_lo_u32 v0, v4, s10
	v_mad_u64_u32 v[8:9], s[10:11], s8, v206, 0
	v_mul_lo_u32 v2, v2, 7
	s_waitcnt lgkmcnt(0)
	s_lshl_b64 s[0:1], s[0:1], 3
	s_add_u32 s2, s14, s0
	s_addc_u32 s3, s15, s1
	s_load_dwordx2 s[2:3], s[2:3], 0x0
	v_mul_lo_u32 v1, v2, s20
	v_mov_b32_e32 v6, v9
	v_mov_b32_e32 v57, 0
	v_add_u32_e32 v56, v0, v1
	s_waitcnt lgkmcnt(0)
	s_mul_i32 s3, s3, s7
	s_mul_hi_u32 s10, s2, s7
	s_add_i32 s3, s10, s3
	s_add_u32 s0, s24, s0
	s_addc_u32 s1, s25, s1
	s_load_dwordx2 s[0:1], s[0:1], 0x0
	s_mul_i32 s2, s2, s7
	s_lshl_b64 s[2:3], s[2:3], 3
	v_add_u32_e32 v0, 0x77, v206
	v_mov_b32_e32 v3, v2
	s_waitcnt lgkmcnt(0)
	s_mul_i32 s1, s1, s7
	s_mul_hi_u32 s10, s0, s7
	s_add_i32 s1, s10, s1
	v_mad_u64_u32 v[6:7], s[10:11], s9, v206, v[6:7]
	s_add_u32 s2, s22, s2
	v_mov_b32_e32 v9, v6
	s_addc_u32 s3, s23, s3
	v_lshlrev_b64 v[6:7], 3, v[56:57]
	v_lshl_add_u64 v[6:7], s[2:3], 0, v[6:7]
	v_lshl_add_u64 v[16:17], v[8:9], 3, v[6:7]
	v_mad_u64_u32 v[8:9], s[2:3], s8, v0, 0
	v_mov_b32_e32 v2, v9
	v_mad_u64_u32 v[10:11], s[2:3], s9, v0, v[2:3]
	v_add_u32_e32 v0, 0xee, v206
	v_mul_u32_u24_e32 v1, 0xe3, v0
	v_lshrrev_b32_e32 v1, 16, v1
	v_mul_lo_u16_e32 v2, 0x121, v1
	v_mov_b32_e32 v9, v10
	v_sub_u16_e32 v0, v0, v2
	v_lshl_add_u64 v[18:19], v[8:9], 3, v[6:7]
	v_mad_u64_u32 v[8:9], s[2:3], s8, v0, 0
	v_mov_b32_e32 v2, v9
	v_mad_u64_u32 v[10:11], s[2:3], s9, v0, v[2:3]
	v_add_u32_e32 v0, 0x165, v206
	v_mul_lo_u32 v56, s20, v1
	v_mul_u32_u24_e32 v1, 0xe3, v0
	v_lshrrev_b32_e32 v1, 16, v1
	v_mov_b32_e32 v9, v10
	v_mul_lo_u16_e32 v2, 0x121, v1
	v_lshl_add_u64 v[8:9], v[8:9], 3, v[6:7]
	v_sub_u16_e32 v0, v0, v2
	v_lshl_add_u64 v[20:21], v[56:57], 3, v[8:9]
	v_mad_u64_u32 v[8:9], s[2:3], s8, v0, 0
	v_mov_b32_e32 v2, v9
	v_mad_u64_u32 v[10:11], s[2:3], s9, v0, v[2:3]
	v_add_u32_e32 v0, 0x1dc, v206
	v_mul_lo_u32 v56, s20, v1
	v_mul_u32_u24_e32 v1, 0xe3, v0
	v_lshrrev_b32_e32 v1, 16, v1
	v_mov_b32_e32 v9, v10
	v_mul_lo_u16_e32 v2, 0x121, v1
	v_lshl_add_u64 v[8:9], v[8:9], 3, v[6:7]
	v_sub_u16_e32 v0, v0, v2
	v_lshl_add_u64 v[22:23], v[56:57], 3, v[8:9]
	global_load_dwordx2 v[8:9], v[16:17], off
	global_load_dwordx2 v[12:13], v[18:19], off
	global_load_dwordx2 v[10:11], v[20:21], off
	global_load_dwordx2 v[14:15], v[22:23], off
	v_mad_u64_u32 v[16:17], s[2:3], s8, v0, 0
	v_mov_b32_e32 v2, v17
	v_mad_u64_u32 v[18:19], s[2:3], s9, v0, v[2:3]
	v_add_u32_e32 v0, 0x253, v206
	v_mul_lo_u32 v56, s20, v1
	v_mul_u32_u24_e32 v1, 0xe3, v0
	v_lshrrev_b32_e32 v1, 16, v1
	v_mul_lo_u16_e32 v2, 0x121, v1
	v_sub_u16_e32 v0, v0, v2
	v_mov_b32_e32 v17, v18
	v_mad_u64_u32 v[18:19], s[2:3], s8, v0, 0
	v_mov_b32_e32 v2, v19
	v_lshl_add_u64 v[16:17], v[16:17], 3, v[6:7]
	v_mad_u64_u32 v[20:21], s[2:3], s9, v0, v[2:3]
	v_add_u32_e32 v0, 0x2ca, v206
	v_lshl_add_u64 v[16:17], v[56:57], 3, v[16:17]
	v_mul_lo_u32 v56, s20, v1
	v_mul_u32_u24_e32 v1, 0xe3, v0
	v_lshrrev_b32_e32 v1, 16, v1
	v_mul_lo_u16_e32 v2, 0x121, v1
	v_sub_u16_e32 v0, v0, v2
	v_mov_b32_e32 v19, v20
	v_mad_u64_u32 v[20:21], s[2:3], s8, v0, 0
	v_mov_b32_e32 v2, v21
	v_lshl_add_u64 v[18:19], v[18:19], 3, v[6:7]
	v_mad_u64_u32 v[22:23], s[2:3], s9, v0, v[2:3]
	v_add_u32_e32 v0, 0x341, v206
	v_lshl_add_u64 v[18:19], v[56:57], 3, v[18:19]
	v_mul_lo_u32 v56, s20, v1
	v_mul_u32_u24_e32 v1, 0xe3, v0
	v_lshrrev_b32_e32 v1, 16, v1
	v_mul_lo_u16_e32 v2, 0x121, v1
	v_sub_u16_e32 v0, v0, v2
	v_mov_b32_e32 v21, v22
	v_mad_u64_u32 v[22:23], s[2:3], s8, v0, 0
	v_mov_b32_e32 v2, v23
	v_lshl_add_u64 v[20:21], v[20:21], 3, v[6:7]
	v_mad_u64_u32 v[24:25], s[2:3], s9, v0, v[2:3]
	v_add_u32_e32 v0, 0x3b8, v206
	v_lshl_add_u64 v[20:21], v[56:57], 3, v[20:21]
	v_mul_lo_u32 v56, s20, v1
	v_mul_u32_u24_e32 v1, 0x717, v0
	v_lshrrev_b32_e32 v1, 19, v1
	v_mov_b32_e32 v23, v24
	v_mul_lo_u16_e32 v2, 0x121, v1
	v_lshl_add_u64 v[22:23], v[22:23], 3, v[6:7]
	v_sub_u16_e32 v0, v0, v2
	v_lshl_add_u64 v[22:23], v[56:57], 3, v[22:23]
	global_load_dwordx2 v[24:25], v[16:17], off
	global_load_dwordx2 v[26:27], v[18:19], off
	global_load_dwordx2 v[28:29], v[20:21], off
	global_load_dwordx2 v[30:31], v[22:23], off
	v_mad_u64_u32 v[16:17], s[2:3], s8, v0, 0
	v_mov_b32_e32 v2, v17
	v_mad_u64_u32 v[18:19], s[2:3], s9, v0, v[2:3]
	v_add_u32_e32 v0, 0x42f, v206
	v_mul_lo_u32 v56, s20, v1
	v_mul_u32_u24_e32 v1, 0x717, v0
	v_lshrrev_b32_e32 v1, 19, v1
	v_mul_lo_u16_e32 v2, 0x121, v1
	v_sub_u16_e32 v0, v0, v2
	v_mov_b32_e32 v17, v18
	v_mad_u64_u32 v[18:19], s[2:3], s8, v0, 0
	v_mov_b32_e32 v2, v19
	v_lshl_add_u64 v[16:17], v[16:17], 3, v[6:7]
	v_mad_u64_u32 v[20:21], s[2:3], s9, v0, v[2:3]
	v_add_u32_e32 v0, 0x4a6, v206
	v_lshl_add_u64 v[16:17], v[56:57], 3, v[16:17]
	v_mul_lo_u32 v56, s20, v1
	v_mul_u32_u24_e32 v1, 0x717, v0
	v_lshrrev_b32_e32 v1, 19, v1
	v_mul_lo_u16_e32 v2, 0x121, v1
	v_sub_u16_e32 v0, v0, v2
	v_mov_b32_e32 v19, v20
	v_mad_u64_u32 v[20:21], s[2:3], s8, v0, 0
	v_mov_b32_e32 v2, v21
	v_lshl_add_u64 v[18:19], v[18:19], 3, v[6:7]
	v_mad_u64_u32 v[22:23], s[2:3], s9, v0, v[2:3]
	v_add_u32_e32 v0, 0x51d, v206
	v_lshl_add_u64 v[18:19], v[56:57], 3, v[18:19]
	v_mul_lo_u32 v56, s20, v1
	v_mul_u32_u24_e32 v1, 0x717, v0
	v_lshrrev_b32_e32 v1, 19, v1
	v_mul_lo_u16_e32 v2, 0x121, v1
	v_sub_u16_e32 v0, v0, v2
	v_mov_b32_e32 v21, v22
	v_mad_u64_u32 v[22:23], s[2:3], s8, v0, 0
	v_mov_b32_e32 v2, v23
	v_lshl_add_u64 v[20:21], v[20:21], 3, v[6:7]
	v_mad_u64_u32 v[32:33], s[2:3], s9, v0, v[2:3]
	v_add_u32_e32 v0, 0x594, v206
	v_lshl_add_u64 v[20:21], v[56:57], 3, v[20:21]
	;; [unrolled: 52-line block ×3, first 2 shown]
	v_mul_lo_u32 v56, s20, v1
	v_mul_u32_u24_e32 v1, 0x717, v0
	v_lshrrev_b32_e32 v1, 19, v1
	v_mov_b32_e32 v23, v40
	v_mul_lo_u16_e32 v2, 0x121, v1
	v_lshl_add_u64 v[22:23], v[22:23], 3, v[6:7]
	v_sub_u16_e32 v0, v0, v2
	v_lshl_add_u64 v[22:23], v[56:57], 3, v[22:23]
	global_load_dwordx2 v[40:41], v[16:17], off
	global_load_dwordx2 v[42:43], v[18:19], off
	;; [unrolled: 1-line block ×4, first 2 shown]
	v_mad_u64_u32 v[16:17], s[2:3], s8, v0, 0
	v_mov_b32_e32 v2, v17
	v_mad_u64_u32 v[18:19], s[2:3], s9, v0, v[2:3]
	v_mov_b32_e32 v17, v18
	v_mul_lo_u32 v56, s20, v1
	v_lshl_add_u64 v[6:7], v[16:17], 3, v[6:7]
	v_lshl_add_u64 v[6:7], v[56:57], 3, v[6:7]
	global_load_dwordx2 v[6:7], v[6:7], off
	v_mul_u32_u24_e32 v0, 0xf10, v206
	v_add_u32_sdwa v1, v3, v0 dst_sel:DWORD dst_unused:UNUSED_PAD src0_sel:DWORD src1_sel:WORD_1
	s_mov_b32 s2, 0x24924925
	v_mul_hi_u32 v2, v1, s2
	v_accvgpr_write_b32 a1, v3
	v_sub_u32_e32 v3, v1, v2
	v_lshrrev_b32_e32 v3, 1, v3
	v_add_u32_e32 v2, v3, v2
	v_lshrrev_b32_e32 v2, 2, v2
	v_mul_lo_u32 v2, v2, 7
	v_sub_u32_e32 v1, v1, v2
	v_lshl_add_u32 v2, v206, 3, 0
	v_add_u32_e32 v3, 0x400, v2
	s_waitcnt vmcnt(13)
	ds_write2_b64 v3, v[10:11], v[14:15] offset0:110 offset1:229
	v_add_u32_e32 v3, 0xc00, v2
	s_waitcnt vmcnt(11)
	ds_write2_b64 v3, v[24:25], v[26:27] offset0:92 offset1:211
	;; [unrolled: 3-line block ×5, first 2 shown]
	v_add_u32_e32 v3, 0x2c00, v2
	ds_write2_b64 v2, v[8:9], v[12:13] offset1:119
	v_mul_u32_u24_e32 v1, 0x121, v1
	s_mov_b32 s2, 0xbeb8f4ab
	v_accvgpr_write_b32 a0, v4
	s_mov_b32 s3, 0x3f6eb680
	s_mov_b32 s38, s3
	;; [unrolled: 1-line block ×31, first 2 shown]
	s_movk_i32 s19, 0x88
	s_mov_b32 s26, 0x3f06c442
	s_mov_b32 s70, s23
	;; [unrolled: 1-line block ×8, first 2 shown]
	s_waitcnt vmcnt(3)
	ds_write2_b64 v3, v[40:41], v[42:43] offset0:20 offset1:139
	v_add_u32_e32 v3, 0x3000, v2
	s_waitcnt vmcnt(1)
	ds_write2_b64 v3, v[44:45], v[46:47] offset0:130 offset1:249
	s_waitcnt vmcnt(0)
	ds_write_b64 v2, v[6:7] offset:15232
	v_mov_b32_e32 v2, 17
	v_mul_lo_u16_sdwa v0, v0, v2 dst_sel:DWORD dst_unused:UNUSED_PAD src0_sel:WORD_1 src1_sel:DWORD
	v_sub_u16_e32 v207, v206, v0
	v_lshlrev_b32_e32 v0, 3, v1
	v_lshlrev_b32_e32 v1, 3, v207
	v_add3_u32 v56, 0, v1, v0
	v_add_u32_e32 v70, 0, v0
	v_add_u32_e32 v0, 0x400, v56
	s_waitcnt lgkmcnt(0)
	s_barrier
	v_add_u32_e32 v228, v70, v1
	ds_read2_b64 v[8:11], v56 offset0:85 offset1:102
	ds_read2_b64 v[12:15], v56 offset0:119 offset1:136
	;; [unrolled: 1-line block ×7, first 2 shown]
	ds_read_b64 v[40:41], v228
	ds_read2_b64 v[36:39], v56 offset0:51 offset1:68
	s_waitcnt lgkmcnt(6)
	v_pk_add_f32 v[68:69], v[16:17], v[10:11]
	v_pk_add_f32 v[2:3], v[10:11], v[16:17] neg_lo:[0,1] neg_hi:[0,1]
	v_pk_add_f32 v[92:93], v[18:19], v[8:9]
	s_waitcnt lgkmcnt(1)
	v_pk_add_f32 v[42:43], v[40:41], v[32:33]
	s_waitcnt lgkmcnt(0)
	v_pk_add_f32 v[98:99], v[26:27], v[36:37]
	v_pk_add_f32 v[42:43], v[42:43], v[34:35]
	;; [unrolled: 1-line block ×4, first 2 shown]
	v_pk_add_f32 v[4:5], v[12:13], v[22:23] neg_lo:[0,1] neg_hi:[0,1]
	v_pk_add_f32 v[42:43], v[42:43], v[38:39]
	v_pk_add_f32 v[46:47], v[30:31], v[32:33]
	;; [unrolled: 1-line block ×3, first 2 shown]
	v_mov_b32_e32 v101, v47
	v_pk_add_f32 v[10:11], v[42:43], v[10:11]
	v_pk_add_f32 v[42:43], v[36:37], v[26:27] neg_lo:[0,1] neg_hi:[0,1]
	v_pk_add_f32 v[10:11], v[10:11], v[12:13]
	v_pk_add_f32 v[36:37], v[8:9], v[18:19] neg_lo:[0,1] neg_hi:[0,1]
	v_pk_add_f32 v[10:11], v[10:11], v[14:15]
	v_pk_add_f32 v[12:13], v[32:33], v[30:31] neg_lo:[0,1] neg_hi:[0,1]
	v_pk_add_f32 v[10:11], v[10:11], v[20:21]
	v_mov_b32_e32 v47, v12
	v_pk_add_f32 v[10:11], v[10:11], v[22:23]
	v_pk_add_f32 v[6:7], v[28:29], v[34:35]
	;; [unrolled: 1-line block ×3, first 2 shown]
	v_pk_add_f32 v[32:33], v[34:35], v[28:29] neg_lo:[0,1] neg_hi:[0,1]
	v_pk_add_f32 v[8:9], v[8:9], v[18:19]
	v_mov_b32_e32 v100, v13
	v_pk_add_f32 v[8:9], v[8:9], v[24:25]
	v_mov_b32_e32 v103, v7
	;; [unrolled: 2-line block ×3, first 2 shown]
	v_pk_add_f32 v[8:9], v[8:9], v[28:29]
	v_pk_add_f32 v[66:67], v[20:21], v[14:15]
	;; [unrolled: 1-line block ×3, first 2 shown]
	v_pk_mul_f32 v[8:9], v[46:47], s[38:39]
	v_pk_add_f32 v[52:53], v[14:15], v[20:21] neg_lo:[0,1] neg_hi:[0,1]
	v_accvgpr_write_b32 a2, v8
	v_pk_fma_f32 v[14:15], v[100:101], s[2:3], v[8:9] neg_lo:[1,0,0] neg_hi:[1,0,0]
	v_pk_fma_f32 v[90:91], v[100:101], s[2:3], v[8:9]
	v_accvgpr_write_b32 a3, v9
	v_pk_mul_f32 v[8:9], v[6:7], s[50:51]
	v_mov_b32_e32 v102, v33
	v_accvgpr_write_b32 a4, v8
	v_mov_b32_e32 v23, v99
	v_mov_b32_e32 v99, v42
	v_pk_add_f32 v[94:95], v[24:25], v[38:39]
	v_pk_add_f32 v[34:35], v[38:39], v[24:25] neg_lo:[0,1] neg_hi:[0,1]
	v_mov_b32_e32 v15, v91
	v_pk_fma_f32 v[24:25], v[102:103], s[8:9], v[8:9] neg_lo:[1,0,0] neg_hi:[1,0,0]
	v_pk_fma_f32 v[174:175], v[102:103], s[8:9], v[8:9]
	v_accvgpr_write_b32 a5, v9
	v_mov_b32_e32 v22, v43
	v_pk_mul_f32 v[8:9], v[98:99], s[60:61]
	v_pk_add_f32 v[20:21], v[40:41], v[14:15]
	v_mov_b32_e32 v25, v175
	v_pk_fma_f32 v[28:29], v[22:23], s[10:11], v[8:9] neg_lo:[1,0,0] neg_hi:[1,0,0]
	v_pk_fma_f32 v[86:87], v[22:23], s[10:11], v[8:9]
	v_pk_add_f32 v[26:27], v[24:25], v[20:21]
	v_mov_b32_e32 v29, v87
	v_accvgpr_write_b32 a6, v8
	v_pk_add_f32 v[32:33], v[28:29], v[26:27]
	v_mov_b32_e32 v27, v95
	v_mov_b32_e32 v95, v34
	v_accvgpr_write_b32 a7, v9
	v_mov_b32_e32 v26, v35
	v_pk_mul_f32 v[8:9], v[94:95], s[48:49]
	v_mad_u32_u24 v229, v207, s19, v70
	v_pk_fma_f32 v[34:35], v[26:27], s[14:15], v[8:9] neg_lo:[1,0,0] neg_hi:[1,0,0]
	v_pk_fma_f32 v[78:79], v[26:27], s[14:15], v[8:9]
	v_accvgpr_write_b32 a8, v8
	v_mov_b32_e32 v35, v79
	v_pk_add_f32 v[38:39], v[34:35], v[32:33]
	v_mov_b32_e32 v33, v93
	v_mov_b32_e32 v93, v36
	v_accvgpr_write_b32 a9, v9
	v_mov_b32_e32 v32, v37
	v_pk_mul_f32 v[8:9], v[92:93], s[36:37]
	s_nop 0
	v_pk_fma_f32 v[42:43], v[32:33], s[16:17], v[8:9] neg_lo:[1,0,0] neg_hi:[1,0,0]
	v_pk_fma_f32 v[82:83], v[32:33], s[16:17], v[8:9]
	s_barrier
	v_mov_b32_e32 v43, v83
	v_pk_add_f32 v[44:45], v[42:43], v[38:39]
	v_mov_b32_e32 v39, v69
	v_mov_b32_e32 v69, v2
	v_mov_b32_e32 v38, v3
	v_pk_mul_f32 v[2:3], v[68:69], s[40:41]
	s_nop 0
	v_pk_fma_f32 v[48:49], v[38:39], s[20:21], v[2:3] neg_lo:[1,0,0] neg_hi:[1,0,0]
	v_pk_fma_f32 v[62:63], v[38:39], s[20:21], v[2:3]
	v_accvgpr_write_b32 a13, v3
	v_mov_b32_e32 v49, v63
	v_pk_add_f32 v[50:51], v[48:49], v[44:45]
	v_mov_b32_e32 v45, v65
	v_mov_b32_e32 v65, v4
	v_accvgpr_write_b32 a12, v2
	v_mov_b32_e32 v44, v5
	v_pk_mul_f32 v[2:3], v[64:65], s[42:43]
	s_mov_b32 s30, 0x3f65296c
	v_pk_fma_f32 v[54:55], v[44:45], s[22:23], v[2:3] neg_lo:[1,0,0] neg_hi:[1,0,0]
	v_pk_fma_f32 v[48:49], v[44:45], s[22:23], v[2:3]
	v_accvgpr_write_b32 a15, v3
	v_mov_b32_e32 v55, v49
	v_pk_add_f32 v[58:59], v[54:55], v[50:51]
	v_mov_b32_e32 v51, v67
	v_mov_b32_e32 v67, v52
	v_accvgpr_write_b32 a14, v2
	v_mov_b32_e32 v50, v53
	v_pk_mul_f32 v[2:3], v[66:67], s[54:55]
	s_mov_b32 s56, s11
	v_pk_fma_f32 v[60:61], v[50:51], s[24:25], v[2:3] neg_lo:[1,0,0] neg_hi:[1,0,0]
	v_pk_fma_f32 v[52:53], v[50:51], s[24:25], v[2:3]
	s_mov_b32 s57, s30
	v_mov_b32_e32 v61, v53
	v_pk_add_f32 v[58:59], v[60:61], v[58:59]
	ds_write2_b64 v229, v[0:1], v[58:59] offset1:1
	v_pk_mul_f32 v[0:1], v[46:47], s[50:51]
	s_mov_b32 s31, s11
	v_accvgpr_write_b32 a19, v1
	v_pk_fma_f32 v[70:71], v[100:101], s[8:9], v[0:1] neg_lo:[1,0,0] neg_hi:[1,0,0]
	v_pk_fma_f32 v[42:43], v[100:101], s[8:9], v[0:1]
	v_accvgpr_write_b32 a18, v0
	v_pk_mul_f32 v[0:1], v[6:7], s[48:49]
	v_mov_b32_e32 v71, v43
	v_pk_fma_f32 v[72:73], v[102:103], s[14:15], v[0:1] neg_lo:[1,0,0] neg_hi:[1,0,0]
	v_pk_fma_f32 v[58:59], v[102:103], s[14:15], v[0:1]
	v_accvgpr_write_b32 a21, v1
	v_accvgpr_write_b32 a20, v0
	v_mov_b32_e32 v73, v59
	v_pk_add_f32 v[70:71], v[40:41], v[70:71]
	v_pk_mul_f32 v[0:1], v[98:99], s[40:41]
	v_pk_add_f32 v[72:73], v[72:73], v[70:71]
	v_pk_fma_f32 v[74:75], v[22:23], s[20:21], v[0:1] neg_lo:[1,0,0] neg_hi:[1,0,0]
	v_pk_fma_f32 v[70:71], v[22:23], s[20:21], v[0:1]
	v_accvgpr_write_b32 a23, v1
	v_accvgpr_write_b32 a22, v0
	v_mov_b32_e32 v75, v71
	v_pk_mul_f32 v[0:1], v[94:95], s[54:55]
	v_pk_add_f32 v[74:75], v[74:75], v[72:73]
	v_pk_fma_f32 v[80:81], v[26:27], s[24:25], v[0:1] neg_lo:[1,0,0] neg_hi:[1,0,0]
	v_pk_fma_f32 v[72:73], v[26:27], s[24:25], v[0:1]
	v_accvgpr_write_b32 a25, v1
	v_accvgpr_write_b32 a24, v0
	v_mov_b32_e32 v81, v73
	;; [unrolled: 7-line block ×3, first 2 shown]
	v_pk_mul_f32 v[0:1], v[68:69], s[68:69]
	v_pk_add_f32 v[84:85], v[84:85], v[80:81]
	v_pk_fma_f32 v[88:89], v[38:39], s[28:29], v[0:1] neg_lo:[1,0,0] neg_hi:[1,0,0]
	v_pk_fma_f32 v[80:81], v[38:39], s[28:29], v[0:1]
	v_pk_mul_f32 v[60:61], v[64:65], s[56:57]
	v_mov_b32_e32 v89, v81
	v_pk_add_f32 v[88:89], v[88:89], v[84:85]
	v_pk_fma_f32 v[96:97], v[44:45], s[30:31], v[60:61] neg_lo:[1,0,0] neg_hi:[1,0,0]
	v_pk_fma_f32 v[84:85], v[44:45], s[30:31], v[60:61]
	s_mov_b32 s34, 0x3eb8f4ab
	v_mov_b32_e32 v97, v85
	s_mov_b32 s62, s3
	s_mov_b32 s63, s34
	v_pk_add_f32 v[104:105], v[96:97], v[88:89]
	s_mov_b32 s35, s3
	v_pk_mul_f32 v[96:97], v[66:67], s[62:63]
	v_pk_mul_f32 v[108:109], v[46:47], s[60:61]
	v_pk_fma_f32 v[106:107], v[50:51], s[34:35], v[96:97] neg_lo:[1,0,0] neg_hi:[1,0,0]
	v_pk_fma_f32 v[88:89], v[50:51], s[34:35], v[96:97]
	v_pk_fma_f32 v[112:113], v[100:101], s[10:11], v[108:109] neg_lo:[1,0,0] neg_hi:[1,0,0]
	v_mov_b32_e32 v107, v89
	v_pk_add_f32 v[136:137], v[106:107], v[104:105]
	v_pk_fma_f32 v[104:105], v[100:101], s[10:11], v[108:109]
	v_pk_mul_f32 v[54:55], v[6:7], s[40:41]
	s_mov_b32 s44, 0x3e3c28d5
	v_mov_b32_e32 v113, v105
	v_pk_fma_f32 v[114:115], v[102:103], s[20:21], v[54:55] neg_lo:[1,0,0] neg_hi:[1,0,0]
	v_pk_fma_f32 v[106:107], v[102:103], s[20:21], v[54:55]
	s_mov_b32 s76, s25
	s_mov_b32 s77, s44
	v_mov_b32_e32 v115, v107
	v_pk_add_f32 v[112:113], v[40:41], v[112:113]
	s_mov_b32 s45, s25
	v_pk_mul_f32 v[120:121], v[98:99], s[76:77]
	v_pk_add_f32 v[114:115], v[114:115], v[112:113]
	v_pk_fma_f32 v[116:117], v[22:23], s[44:45], v[120:121] neg_lo:[1,0,0] neg_hi:[1,0,0]
	v_pk_fma_f32 v[112:113], v[22:23], s[44:45], v[120:121]
	v_pk_mul_f32 v[122:123], v[94:95], s[68:69]
	v_mov_b32_e32 v117, v113
	s_mov_b32 s46, 0x3f2c7751
	v_pk_add_f32 v[116:117], v[116:117], v[114:115]
	v_pk_fma_f32 v[118:119], v[26:27], s[28:29], v[122:123] neg_lo:[1,0,0] neg_hi:[1,0,0]
	v_pk_fma_f32 v[114:115], v[26:27], s[28:29], v[122:123]
	s_mov_b32 s64, s9
	s_mov_b32 s65, s46
	v_mov_b32_e32 v119, v115
	s_mov_b32 s47, s9
	v_pk_mul_f32 v[110:111], v[92:93], s[64:65]
	v_pk_add_f32 v[118:119], v[118:119], v[116:117]
	v_pk_fma_f32 v[124:125], v[32:33], s[46:47], v[110:111] neg_lo:[1,0,0] neg_hi:[1,0,0]
	v_pk_fma_f32 v[116:117], v[32:33], s[46:47], v[110:111]
	v_pk_mul_f32 v[130:131], v[68:69], s[38:39]
	v_mov_b32_e32 v125, v117
	v_pk_add_f32 v[124:125], v[124:125], v[118:119]
	v_pk_fma_f32 v[126:127], v[38:39], s[2:3], v[130:131] neg_lo:[1,0,0] neg_hi:[1,0,0]
	v_pk_fma_f32 v[118:119], v[38:39], s[2:3], v[130:131]
	v_pk_mul_f32 v[128:129], v[64:65], s[48:49]
	v_mov_b32_e32 v127, v119
	;; [unrolled: 5-line block ×3, first 2 shown]
	v_pk_add_f32 v[138:139], v[134:135], v[126:127]
	v_pk_mul_f32 v[134:135], v[66:67], s[42:43]
	v_pk_fma_f32 v[146:147], v[102:103], s[24:25], v[142:143] neg_lo:[1,0,0] neg_hi:[1,0,0]
	v_pk_fma_f32 v[140:141], v[50:51], s[22:23], v[134:135] neg_lo:[1,0,0] neg_hi:[1,0,0]
	v_pk_fma_f32 v[126:127], v[50:51], s[22:23], v[134:135]
	v_pk_mul_f32 v[152:153], v[98:99], s[68:69]
	v_mov_b32_e32 v141, v127
	v_pk_add_f32 v[138:139], v[140:141], v[138:139]
	v_pk_mul_f32 v[140:141], v[46:47], s[48:49]
	ds_write2_b64 v229, v[136:137], v[138:139] offset0:2 offset1:3
	v_pk_fma_f32 v[144:145], v[100:101], s[14:15], v[140:141] neg_lo:[1,0,0] neg_hi:[1,0,0]
	v_pk_fma_f32 v[136:137], v[100:101], s[14:15], v[140:141]
	v_pk_fma_f32 v[138:139], v[102:103], s[24:25], v[142:143]
	v_mov_b32_e32 v145, v137
	v_mov_b32_e32 v147, v139
	v_pk_add_f32 v[144:145], v[40:41], v[144:145]
	v_pk_fma_f32 v[148:149], v[22:23], s[28:29], v[152:153] neg_lo:[1,0,0] neg_hi:[1,0,0]
	v_pk_add_f32 v[146:147], v[146:147], v[144:145]
	v_pk_fma_f32 v[144:145], v[22:23], s[28:29], v[152:153]
	v_pk_mul_f32 v[154:155], v[94:95], s[62:63]
	v_mov_b32_e32 v149, v145
	v_pk_add_f32 v[148:149], v[148:149], v[146:147]
	v_pk_fma_f32 v[150:151], v[26:27], s[34:35], v[154:155] neg_lo:[1,0,0] neg_hi:[1,0,0]
	v_pk_fma_f32 v[146:147], v[26:27], s[34:35], v[154:155]
	v_pk_mul_f32 v[158:159], v[92:93], s[60:61]
	v_mov_b32_e32 v151, v147
	v_pk_add_f32 v[150:151], v[150:151], v[148:149]
	v_pk_fma_f32 v[156:157], v[32:33], s[10:11], v[158:159] neg_lo:[1,0,0] neg_hi:[1,0,0]
	v_pk_fma_f32 v[148:149], v[32:33], s[10:11], v[158:159]
	v_pk_mul_f32 v[160:161], v[68:69], s[42:43]
	v_mov_b32_e32 v157, v149
	s_mov_b32 s58, 0x3f4c4adb
	v_pk_add_f32 v[156:157], v[156:157], v[150:151]
	v_pk_fma_f32 v[162:163], v[38:39], s[22:23], v[160:161] neg_lo:[1,0,0] neg_hi:[1,0,0]
	v_pk_fma_f32 v[150:151], v[38:39], s[22:23], v[160:161]
	s_mov_b32 s74, s21
	s_mov_b32 s75, s58
	v_mov_b32_e32 v163, v151
	s_mov_b32 s59, s21
	v_pk_mul_f32 v[132:133], v[64:65], s[74:75]
	v_pk_add_f32 v[162:163], v[162:163], v[156:157]
	v_pk_fma_f32 v[166:167], v[44:45], s[58:59], v[132:133] neg_lo:[1,0,0] neg_hi:[1,0,0]
	v_pk_fma_f32 v[156:157], v[44:45], s[58:59], v[132:133]
	v_pk_mul_f32 v[164:165], v[46:47], s[36:37]
	v_mov_b32_e32 v167, v157
	v_pk_add_f32 v[168:169], v[166:167], v[162:163]
	v_pk_mul_f32 v[166:167], v[66:67], s[64:65]
	v_pk_fma_f32 v[176:177], v[100:101], s[16:17], v[164:165] neg_lo:[1,0,0] neg_hi:[1,0,0]
	v_pk_fma_f32 v[170:171], v[50:51], s[46:47], v[166:167] neg_lo:[1,0,0] neg_hi:[1,0,0]
	v_pk_fma_f32 v[162:163], v[50:51], s[46:47], v[166:167]
	v_pk_mul_f32 v[172:173], v[6:7], s[70:71]
	v_mov_b32_e32 v171, v163
	v_pk_add_f32 v[200:201], v[170:171], v[168:169]
	v_pk_fma_f32 v[168:169], v[100:101], s[16:17], v[164:165]
	v_pk_fma_f32 v[178:179], v[102:103], s[26:27], v[172:173] neg_lo:[1,0,0] neg_hi:[1,0,0]
	v_mov_b32_e32 v177, v169
	v_pk_fma_f32 v[170:171], v[102:103], s[26:27], v[172:173]
	v_pk_add_f32 v[176:177], v[40:41], v[176:177]
	v_mov_b32_e32 v179, v171
	v_pk_mul_f32 v[184:185], v[98:99], s[64:65]
	v_pk_add_f32 v[178:179], v[178:179], v[176:177]
	v_pk_fma_f32 v[180:181], v[22:23], s[46:47], v[184:185] neg_lo:[1,0,0] neg_hi:[1,0,0]
	v_pk_fma_f32 v[176:177], v[22:23], s[46:47], v[184:185]
	v_pk_mul_f32 v[186:187], v[94:95], s[60:61]
	v_mov_b32_e32 v181, v177
	v_pk_add_f32 v[180:181], v[180:181], v[178:179]
	v_pk_fma_f32 v[182:183], v[26:27], s[10:11], v[186:187] neg_lo:[1,0,0] neg_hi:[1,0,0]
	v_pk_fma_f32 v[178:179], v[26:27], s[10:11], v[186:187]
	v_pk_mul_f32 v[190:191], v[92:93], s[54:55]
	v_mov_b32_e32 v183, v179
	s_mov_b32 s66, 0x3f7ee86f
	v_pk_add_f32 v[182:183], v[182:183], v[180:181]
	v_pk_fma_f32 v[188:189], v[32:33], s[24:25], v[190:191] neg_lo:[1,0,0] neg_hi:[1,0,0]
	v_pk_fma_f32 v[180:181], v[32:33], s[24:25], v[190:191]
	s_mov_b32 s72, s15
	s_mov_b32 s73, s66
	v_mov_b32_e32 v189, v181
	s_mov_b32 s67, s15
	v_pk_mul_f32 v[76:77], v[68:69], s[72:73]
	v_pk_add_f32 v[188:189], v[188:189], v[182:183]
	v_pk_fma_f32 v[192:193], v[38:39], s[66:67], v[76:77] neg_lo:[1,0,0] neg_hi:[1,0,0]
	v_pk_fma_f32 v[182:183], v[38:39], s[66:67], v[76:77]
	v_pk_mul_f32 v[194:195], v[64:65], s[38:39]
	v_mov_b32_e32 v193, v183
	v_pk_add_f32 v[192:193], v[192:193], v[188:189]
	v_pk_fma_f32 v[198:199], v[44:45], s[2:3], v[194:195] neg_lo:[1,0,0] neg_hi:[1,0,0]
	v_pk_fma_f32 v[188:189], v[44:45], s[2:3], v[194:195]
	v_pk_mul_f32 v[196:197], v[6:7], s[68:69]
	v_mov_b32_e32 v199, v189
	v_pk_add_f32 v[202:203], v[198:199], v[192:193]
	v_pk_mul_f32 v[198:199], v[66:67], s[40:41]
	v_pk_fma_f32 v[210:211], v[102:103], s[28:29], v[196:197] neg_lo:[1,0,0] neg_hi:[1,0,0]
	v_pk_fma_f32 v[204:205], v[50:51], s[20:21], v[198:199] neg_lo:[1,0,0] neg_hi:[1,0,0]
	v_pk_fma_f32 v[192:193], v[50:51], s[20:21], v[198:199]
	v_pk_mul_f32 v[218:219], v[98:99], s[38:39]
	v_mov_b32_e32 v205, v193
	v_pk_add_f32 v[202:203], v[204:205], v[202:203]
	v_pk_mul_f32 v[204:205], v[46:47], s[40:41]
	ds_write2_b64 v229, v[200:201], v[202:203] offset0:4 offset1:5
	v_pk_fma_f32 v[208:209], v[100:101], s[20:21], v[204:205] neg_lo:[1,0,0] neg_hi:[1,0,0]
	v_pk_fma_f32 v[200:201], v[100:101], s[20:21], v[204:205]
	v_pk_fma_f32 v[202:203], v[102:103], s[28:29], v[196:197]
	v_mov_b32_e32 v209, v201
	v_mov_b32_e32 v211, v203
	v_pk_add_f32 v[208:209], v[40:41], v[208:209]
	v_pk_fma_f32 v[212:213], v[22:23], s[2:3], v[218:219] neg_lo:[1,0,0] neg_hi:[1,0,0]
	v_pk_add_f32 v[210:211], v[210:211], v[208:209]
	v_pk_fma_f32 v[208:209], v[22:23], s[2:3], v[218:219]
	v_pk_mul_f32 v[220:221], v[94:95], s[42:43]
	v_mov_b32_e32 v213, v209
	v_pk_add_f32 v[212:213], v[212:213], v[210:211]
	v_pk_fma_f32 v[214:215], v[26:27], s[22:23], v[220:221] neg_lo:[1,0,0] neg_hi:[1,0,0]
	v_pk_fma_f32 v[210:211], v[26:27], s[22:23], v[220:221]
	v_pk_mul_f32 v[224:225], v[92:93], s[72:73]
	v_mov_b32_e32 v215, v211
	v_pk_add_f32 v[214:215], v[214:215], v[212:213]
	v_pk_fma_f32 v[216:217], v[32:33], s[66:67], v[224:225] neg_lo:[1,0,0] neg_hi:[1,0,0]
	;; [unrolled: 5-line block ×5, first 2 shown]
	v_pk_fma_f32 v[222:223], v[50:51], s[30:31], v[234:235]
	v_pk_mul_f32 v[242:243], v[6:7], s[56:57]
	v_mov_b32_e32 v237, v223
	v_pk_add_f32 v[232:233], v[236:237], v[232:233]
	v_pk_mul_f32 v[236:237], v[46:47], s[42:43]
	v_pk_fma_f32 v[244:245], v[102:103], s[30:31], v[242:243] neg_lo:[1,0,0] neg_hi:[1,0,0]
	v_pk_fma_f32 v[238:239], v[100:101], s[22:23], v[236:237] neg_lo:[1,0,0] neg_hi:[1,0,0]
	v_pk_fma_f32 v[240:241], v[100:101], s[22:23], v[236:237]
	v_pk_fma_f32 v[246:247], v[102:103], s[30:31], v[242:243]
	v_mov_b32_e32 v239, v241
	v_mov_b32_e32 v245, v247
	v_pk_add_f32 v[238:239], v[40:41], v[238:239]
	v_accvgpr_write_b32 a29, v1
	v_pk_add_f32 v[238:239], v[244:245], v[238:239]
	v_pk_mul_f32 v[244:245], v[98:99], s[48:49]
	v_accvgpr_write_b32 a28, v0
	v_pk_fma_f32 v[248:249], v[22:23], s[14:15], v[244:245] neg_lo:[1,0,0] neg_hi:[1,0,0]
	v_pk_fma_f32 v[250:251], v[22:23], s[14:15], v[244:245]
	v_accvgpr_write_b32 a17, v3
	v_mov_b32_e32 v249, v251
	v_pk_add_f32 v[238:239], v[248:249], v[238:239]
	v_pk_mul_f32 v[248:249], v[94:95], s[74:75]
	v_accvgpr_write_b32 a16, v2
	v_pk_fma_f32 v[252:253], v[26:27], s[58:59], v[248:249] neg_lo:[1,0,0] neg_hi:[1,0,0]
	v_pk_fma_f32 v[254:255], v[26:27], s[58:59], v[248:249]
	v_pk_mul_f32 v[36:37], v[64:65], s[64:65]
	v_mov_b32_e32 v253, v255
	v_pk_add_f32 v[238:239], v[252:253], v[238:239]
	v_pk_mul_f32 v[252:253], v[92:93], s[38:39]
	v_pk_fma_f32 v[18:19], v[44:45], s[46:47], v[36:37]
	v_pk_fma_f32 v[0:1], v[32:33], s[2:3], v[252:253] neg_lo:[1,0,0] neg_hi:[1,0,0]
	v_pk_fma_f32 v[24:25], v[32:33], s[2:3], v[252:253]
	v_pk_mul_f32 v[34:35], v[66:67], s[36:37]
	v_mov_b32_e32 v1, v25
	v_pk_add_f32 v[2:3], v[0:1], v[238:239]
	v_pk_mul_f32 v[238:239], v[68:69], s[54:55]
	v_pk_fma_f32 v[16:17], v[50:51], s[16:17], v[34:35]
	v_pk_fma_f32 v[0:1], v[38:39], s[24:25], v[238:239] neg_lo:[1,0,0] neg_hi:[1,0,0]
	v_pk_fma_f32 v[20:21], v[38:39], s[24:25], v[238:239]
	v_pk_mul_f32 v[30:31], v[46:47], s[54:55]
	v_mov_b32_e32 v1, v21
	v_pk_add_f32 v[2:3], v[0:1], v[2:3]
	v_pk_fma_f32 v[0:1], v[44:45], s[46:47], v[36:37] neg_lo:[1,0,0] neg_hi:[1,0,0]
	v_pk_fma_f32 v[46:47], v[100:101], s[24:25], v[30:31]
	v_mov_b32_e32 v1, v19
	v_pk_add_f32 v[2:3], v[0:1], v[2:3]
	v_pk_fma_f32 v[0:1], v[50:51], s[16:17], v[34:35] neg_lo:[1,0,0] neg_hi:[1,0,0]
	v_pk_mul_f32 v[28:29], v[6:7], s[62:63]
	v_mov_b32_e32 v1, v17
	v_pk_add_f32 v[0:1], v[0:1], v[2:3]
	v_pk_fma_f32 v[2:3], v[100:101], s[24:25], v[30:31] neg_lo:[1,0,0] neg_hi:[1,0,0]
	ds_write2_b64 v229, v[232:233], v[0:1] offset0:6 offset1:7
	v_mov_b32_e32 v3, v47
	v_pk_fma_f32 v[232:233], v[102:103], s[34:35], v[28:29] neg_lo:[1,0,0] neg_hi:[1,0,0]
	v_pk_fma_f32 v[12:13], v[102:103], s[34:35], v[28:29]
	v_pk_add_f32 v[2:3], v[40:41], v[2:3]
	v_mov_b32_e32 v233, v13
	v_pk_mul_f32 v[98:99], v[98:99], s[42:43]
	v_pk_add_f32 v[0:1], v[232:233], v[2:3]
	v_pk_fma_f32 v[232:233], v[22:23], s[22:23], v[98:99] neg_lo:[1,0,0] neg_hi:[1,0,0]
	v_pk_fma_f32 v[10:11], v[22:23], s[22:23], v[98:99]
	v_accvgpr_write_b32 a11, v9
	v_mov_b32_e32 v233, v11
	v_pk_mul_f32 v[94:95], v[94:95], s[64:65]
	v_accvgpr_write_b32 a10, v8
	v_pk_add_f32 v[0:1], v[232:233], v[0:1]
	v_pk_fma_f32 v[232:233], v[26:27], s[46:47], v[94:95] neg_lo:[1,0,0] neg_hi:[1,0,0]
	v_pk_fma_f32 v[8:9], v[26:27], s[46:47], v[94:95]
	v_pk_mul_f32 v[92:93], v[92:93], s[40:41]
	v_mov_b32_e32 v233, v9
	v_pk_add_f32 v[0:1], v[232:233], v[0:1]
	v_pk_fma_f32 v[232:233], v[32:33], s[20:21], v[92:93] neg_lo:[1,0,0] neg_hi:[1,0,0]
	v_pk_fma_f32 v[6:7], v[32:33], s[20:21], v[92:93]
	v_pk_fma_f32 v[28:29], v[102:103], s[34:35], v[28:29] neg_lo:[0,0,1] neg_hi:[0,0,1]
	v_mov_b32_e32 v233, v7
	v_pk_mul_f32 v[68:69], v[68:69], s[56:57]
	v_mov_b32_e32 v13, v29
	v_pk_fma_f32 v[28:29], v[22:23], s[22:23], v[98:99] neg_lo:[0,0,1] neg_hi:[0,0,1]
	v_pk_add_f32 v[0:1], v[232:233], v[0:1]
	v_pk_fma_f32 v[232:233], v[38:39], s[30:31], v[68:69] neg_lo:[1,0,0] neg_hi:[1,0,0]
	v_pk_fma_f32 v[4:5], v[38:39], s[30:31], v[68:69]
	v_mov_b32_e32 v11, v29
	v_pk_fma_f32 v[28:29], v[26:27], s[46:47], v[94:95] neg_lo:[0,0,1] neg_hi:[0,0,1]
	v_mov_b32_e32 v233, v5
	v_pk_mul_f32 v[64:65], v[64:65], s[36:37]
	v_mov_b32_e32 v9, v29
	v_pk_fma_f32 v[28:29], v[32:33], s[20:21], v[92:93] neg_lo:[0,0,1] neg_hi:[0,0,1]
	v_pk_add_f32 v[0:1], v[232:233], v[0:1]
	v_pk_fma_f32 v[232:233], v[44:45], s[16:17], v[64:65] neg_lo:[1,0,0] neg_hi:[1,0,0]
	v_pk_fma_f32 v[2:3], v[44:45], s[16:17], v[64:65]
	v_mov_b32_e32 v7, v29
	v_pk_fma_f32 v[28:29], v[38:39], s[30:31], v[68:69] neg_lo:[0,0,1] neg_hi:[0,0,1]
	v_mov_b32_e32 v233, v3
	v_pk_mul_f32 v[66:67], v[66:67], s[72:73]
	v_pk_fma_f32 v[30:31], v[100:101], s[24:25], v[30:31] neg_lo:[0,0,1] neg_hi:[0,0,1]
	v_mov_b32_e32 v5, v29
	v_pk_fma_f32 v[28:29], v[44:45], s[16:17], v[64:65] neg_lo:[0,0,1] neg_hi:[0,0,1]
	v_pk_add_f32 v[14:15], v[232:233], v[0:1]
	v_pk_fma_f32 v[232:233], v[50:51], s[66:67], v[66:67] neg_lo:[1,0,0] neg_hi:[1,0,0]
	v_pk_fma_f32 v[0:1], v[50:51], s[66:67], v[66:67]
	v_mov_b32_e32 v47, v31
	v_mov_b32_e32 v3, v29
	v_pk_fma_f32 v[28:29], v[50:51], s[66:67], v[66:67] neg_lo:[0,0,1] neg_hi:[0,0,1]
	v_mov_b32_e32 v233, v1
	v_mov_b32_e32 v1, v29
	v_pk_add_f32 v[28:29], v[40:41], v[46:47]
	v_pk_add_f32 v[14:15], v[232:233], v[14:15]
	;; [unrolled: 1-line block ×3, first 2 shown]
	s_mul_i32 s0, s0, s7
	v_pk_add_f32 v[10:11], v[10:11], v[12:13]
	s_lshl_b64 s[0:1], s[0:1], 3
	v_pk_add_f32 v[8:9], v[8:9], v[10:11]
	s_nop 0
	v_pk_add_f32 v[6:7], v[6:7], v[8:9]
	s_nop 0
	;; [unrolled: 2-line block ×4, first 2 shown]
	v_pk_add_f32 v[0:1], v[0:1], v[2:3]
	ds_write2_b64 v229, v[14:15], v[0:1] offset0:8 offset1:9
	v_pk_fma_f32 v[0:1], v[100:101], s[22:23], v[236:237] neg_lo:[0,0,1] neg_hi:[0,0,1]
	v_pk_fma_f32 v[2:3], v[100:101], s[20:21], v[204:205] neg_lo:[0,0,1] neg_hi:[0,0,1]
	v_mov_b32_e32 v241, v1
	v_pk_fma_f32 v[0:1], v[102:103], s[30:31], v[242:243] neg_lo:[0,0,1] neg_hi:[0,0,1]
	v_mov_b32_e32 v201, v3
	;; [unrolled: 2-line block ×15, first 2 shown]
	v_pk_add_f32 v[0:1], v[40:41], v[240:241]
	v_mov_b32_e32 v223, v3
	v_pk_add_f32 v[2:3], v[40:41], v[200:201]
	v_pk_add_f32 v[0:1], v[246:247], v[0:1]
	;; [unrolled: 1-line block ×15, first 2 shown]
	ds_write2_b64 v229, v[0:1], v[2:3] offset0:10 offset1:11
	v_pk_fma_f32 v[0:1], v[100:101], s[16:17], v[164:165] neg_lo:[0,0,1] neg_hi:[0,0,1]
	v_pk_fma_f32 v[2:3], v[100:101], s[14:15], v[140:141] neg_lo:[0,0,1] neg_hi:[0,0,1]
	v_mov_b32_e32 v169, v1
	v_pk_fma_f32 v[0:1], v[102:103], s[26:27], v[172:173] neg_lo:[0,0,1] neg_hi:[0,0,1]
	v_mov_b32_e32 v137, v3
	;; [unrolled: 2-line block ×15, first 2 shown]
	v_pk_add_f32 v[0:1], v[40:41], v[168:169]
	v_mov_b32_e32 v163, v3
	v_pk_add_f32 v[2:3], v[40:41], v[136:137]
	v_pk_add_f32 v[0:1], v[170:171], v[0:1]
	v_pk_add_f32 v[2:3], v[138:139], v[2:3]
	v_pk_add_f32 v[0:1], v[176:177], v[0:1]
	v_pk_add_f32 v[2:3], v[144:145], v[2:3]
	v_pk_add_f32 v[0:1], v[178:179], v[0:1]
	v_pk_add_f32 v[2:3], v[146:147], v[2:3]
	v_pk_add_f32 v[0:1], v[180:181], v[0:1]
	v_pk_add_f32 v[2:3], v[148:149], v[2:3]
	v_pk_add_f32 v[0:1], v[182:183], v[0:1]
	v_pk_add_f32 v[2:3], v[150:151], v[2:3]
	v_pk_add_f32 v[0:1], v[188:189], v[0:1]
	v_pk_add_f32 v[2:3], v[156:157], v[2:3]
	v_pk_add_f32 v[0:1], v[192:193], v[0:1]
	v_pk_add_f32 v[2:3], v[162:163], v[2:3]
	ds_write2_b64 v229, v[0:1], v[2:3] offset0:12 offset1:13
	v_accvgpr_read_b32 v2, a18
	v_accvgpr_read_b32 v3, a19
	v_pk_fma_f32 v[2:3], v[100:101], s[8:9], v[2:3] neg_lo:[0,0,1] neg_hi:[0,0,1]
	v_pk_fma_f32 v[0:1], v[100:101], s[10:11], v[108:109] neg_lo:[0,0,1] neg_hi:[0,0,1]
	v_mov_b32_e32 v43, v3
	v_accvgpr_read_b32 v2, a20
	v_accvgpr_read_b32 v3, a21
	v_pk_fma_f32 v[2:3], v[102:103], s[14:15], v[2:3] neg_lo:[0,0,1] neg_hi:[0,0,1]
	v_mov_b32_e32 v105, v1
	v_mov_b32_e32 v59, v3
	v_accvgpr_read_b32 v2, a22
	v_accvgpr_read_b32 v3, a23
	v_pk_fma_f32 v[2:3], v[22:23], s[20:21], v[2:3] neg_lo:[0,0,1] neg_hi:[0,0,1]
	v_pk_fma_f32 v[0:1], v[102:103], s[20:21], v[54:55] neg_lo:[0,0,1] neg_hi:[0,0,1]
	v_mov_b32_e32 v71, v3
	v_accvgpr_read_b32 v2, a24
	v_accvgpr_read_b32 v3, a25
	v_pk_fma_f32 v[2:3], v[26:27], s[24:25], v[2:3] neg_lo:[0,0,1] neg_hi:[0,0,1]
	v_mov_b32_e32 v107, v1
	v_mov_b32_e32 v73, v3
	v_accvgpr_read_b32 v2, a26
	v_accvgpr_read_b32 v3, a27
	v_pk_fma_f32 v[0:1], v[22:23], s[44:45], v[120:121] neg_lo:[0,0,1] neg_hi:[0,0,1]
	v_pk_fma_f32 v[2:3], v[32:33], s[26:27], v[2:3] neg_lo:[0,0,1] neg_hi:[0,0,1]
	v_mov_b32_e32 v113, v1
	v_pk_fma_f32 v[0:1], v[26:27], s[28:29], v[122:123] neg_lo:[0,0,1] neg_hi:[0,0,1]
	v_mov_b32_e32 v75, v3
	v_accvgpr_read_b32 v2, a28
	v_mov_b32_e32 v115, v1
	v_pk_fma_f32 v[0:1], v[32:33], s[46:47], v[110:111] neg_lo:[0,0,1] neg_hi:[0,0,1]
	v_accvgpr_read_b32 v3, a29
	v_mov_b32_e32 v117, v1
	v_pk_fma_f32 v[0:1], v[38:39], s[2:3], v[130:131] neg_lo:[0,0,1] neg_hi:[0,0,1]
	v_pk_fma_f32 v[2:3], v[38:39], s[28:29], v[2:3] neg_lo:[0,0,1] neg_hi:[0,0,1]
	v_mov_b32_e32 v119, v1
	v_pk_fma_f32 v[0:1], v[44:45], s[14:15], v[128:129] neg_lo:[0,0,1] neg_hi:[0,0,1]
	v_mov_b32_e32 v81, v3
	;; [unrolled: 2-line block ×5, first 2 shown]
	v_pk_add_f32 v[0:1], v[40:41], v[104:105]
	v_mov_b32_e32 v89, v3
	v_pk_add_f32 v[2:3], v[40:41], v[42:43]
	v_pk_add_f32 v[0:1], v[106:107], v[0:1]
	;; [unrolled: 1-line block ×15, first 2 shown]
	ds_write2_b64 v229, v[0:1], v[2:3] offset0:14 offset1:15
	v_accvgpr_read_b32 v2, a4
	v_accvgpr_read_b32 v3, a5
	v_pk_fma_f32 v[2:3], v[102:103], s[8:9], v[2:3] neg_lo:[0,0,1] neg_hi:[0,0,1]
	v_accvgpr_read_b32 v0, a2
	v_mov_b32_e32 v175, v3
	v_accvgpr_read_b32 v2, a6
	v_accvgpr_read_b32 v3, a7
	v_pk_fma_f32 v[2:3], v[22:23], s[10:11], v[2:3] neg_lo:[0,0,1] neg_hi:[0,0,1]
	v_accvgpr_read_b32 v1, a3
	v_mov_b32_e32 v87, v3
	v_accvgpr_read_b32 v2, a8
	v_accvgpr_read_b32 v3, a9
	v_pk_fma_f32 v[2:3], v[26:27], s[14:15], v[2:3] neg_lo:[0,0,1] neg_hi:[0,0,1]
	v_pk_fma_f32 v[0:1], v[100:101], s[2:3], v[0:1] neg_lo:[0,0,1] neg_hi:[0,0,1]
	v_mov_b32_e32 v79, v3
	v_accvgpr_read_b32 v2, a10
	v_accvgpr_read_b32 v3, a11
	v_pk_fma_f32 v[2:3], v[32:33], s[16:17], v[2:3] neg_lo:[0,0,1] neg_hi:[0,0,1]
	v_mov_b32_e32 v91, v1
	v_mov_b32_e32 v83, v3
	v_accvgpr_read_b32 v2, a12
	v_accvgpr_read_b32 v3, a13
	v_pk_fma_f32 v[2:3], v[38:39], s[20:21], v[2:3] neg_lo:[0,0,1] neg_hi:[0,0,1]
	v_pk_add_f32 v[0:1], v[40:41], v[90:91]
	v_mov_b32_e32 v63, v3
	v_accvgpr_read_b32 v2, a14
	v_pk_add_f32 v[0:1], v[174:175], v[0:1]
	v_accvgpr_read_b32 v3, a15
	v_pk_add_f32 v[0:1], v[86:87], v[0:1]
	v_pk_fma_f32 v[2:3], v[44:45], s[22:23], v[2:3] neg_lo:[0,0,1] neg_hi:[0,0,1]
	v_pk_add_f32 v[0:1], v[78:79], v[0:1]
	v_mov_b32_e32 v49, v3
	v_accvgpr_read_b32 v2, a16
	v_pk_add_f32 v[0:1], v[82:83], v[0:1]
	v_accvgpr_read_b32 v3, a17
	v_pk_add_f32 v[0:1], v[62:63], v[0:1]
	v_pk_fma_f32 v[2:3], v[50:51], s[24:25], v[2:3] neg_lo:[0,0,1] neg_hi:[0,0,1]
	v_pk_add_f32 v[0:1], v[48:49], v[0:1]
	v_mov_b32_e32 v53, v3
	v_pk_add_f32 v[0:1], v[52:53], v[0:1]
	ds_write_b64 v229, v[0:1] offset:128
	v_lshlrev_b32_e32 v0, 7, v207
	s_waitcnt lgkmcnt(0)
	s_barrier
	global_load_dwordx4 v[6:9], v0, s[52:53]
	global_load_dwordx4 v[10:13], v0, s[52:53] offset:16
	global_load_dwordx4 v[14:17], v0, s[52:53] offset:32
	;; [unrolled: 1-line block ×7, first 2 shown]
	ds_read2_b64 v[38:41], v56 offset0:17 offset1:34
	ds_read2_b64 v[46:49], v56 offset0:102 offset1:119
	;; [unrolled: 1-line block ×3, first 2 shown]
	ds_read2_b32 v[0:1], v56 offset0:102 offset1:103
	ds_read_b64 v[2:3], v56 offset:2176
	ds_read2_b64 v[50:53], v56 offset0:136 offset1:153
	s_waitcnt lgkmcnt(3)
	v_mov_b32_e32 v4, v43
	s_waitcnt vmcnt(7)
	v_mul_f32_e32 v5, v7, v39
	v_mul_f32_e32 v68, v7, v38
	;; [unrolled: 1-line block ×3, first 2 shown]
	s_waitcnt vmcnt(6)
	v_mov_b32_e32 v54, v13
	s_waitcnt vmcnt(4)
	v_pk_mul_f32 v[66:67], v[48:49], v[18:19] op_sel:[1,0] op_sel_hi:[0,1]
	v_mul_f32_e32 v69, v9, v40
	v_mov_b32_e32 v60, v15
	v_fma_f32 v66, v6, v38, -v5
	v_fmac_f32_e32 v68, v6, v39
	v_fma_f32 v71, v8, v40, -v7
	v_pk_mul_f32 v[6:7], v[42:43], v[54:55]
	s_waitcnt lgkmcnt(2)
	v_mul_f32_e32 v9, v1, v11
	v_mov_b32_e32 v62, v17
	v_fmac_f32_e32 v69, v8, v41
	v_pk_fma_f32 v[4:5], v[4:5], v[12:13], v[6:7]
	v_pk_mul_f32 v[6:7], v[44:45], v[60:61]
	v_mov_b32_e32 v8, v45
	v_pk_mul_f32 v[58:59], v[44:45], v[14:15]
	v_pk_mul_f32 v[64:65], v[46:47], v[16:17] op_sel:[1,0] op_sel_hi:[0,1]
	v_pk_fma_f32 v[44:45], v[8:9], v[14:15], v[6:7]
	v_pk_mul_f32 v[6:7], v[46:47], v[62:63] op_sel:[1,0] op_sel_hi:[0,1]
	v_pk_fma_f32 v[60:61], v[46:47], v[16:17], v[6:7] neg_lo:[0,0,1] neg_hi:[0,0,1]
	v_mov_b32_e32 v6, v65
	v_fma_f32 v72, v10, v0, -v9
	v_pk_fma_f32 v[46:47], v[46:47], v[16:17], v[6:7] op_sel:[1,0,0] op_sel_hi:[0,1,1]
	ds_read2_b64 v[6:9], v56 offset0:170 offset1:187
	v_mov_b32_e32 v64, v19
	v_mul_f32_e32 v70, v11, v0
	v_pk_mul_f32 v[42:43], v[42:43], v[12:13]
	v_pk_mul_f32 v[12:13], v[48:49], v[64:65] op_sel:[1,0] op_sel_hi:[0,1]
	v_mov_b32_e32 v0, v21
	v_fmac_f32_e32 v70, v1, v10
	s_waitcnt vmcnt(3)
	v_mov_b32_e32 v10, v25
	v_pk_fma_f32 v[62:63], v[48:49], v[18:19], v[12:13] neg_lo:[0,0,1] neg_hi:[0,0,1]
	v_mov_b32_e32 v12, v67
	s_waitcnt lgkmcnt(1)
	v_pk_mul_f32 v[0:1], v[50:51], v[0:1] op_sel_hi:[1,0]
	v_pk_mul_f32 v[40:41], v[52:53], v[22:23] op_sel:[0,1]
	v_pk_fma_f32 v[48:49], v[48:49], v[18:19], v[12:13] op_sel:[1,0,0] op_sel_hi:[0,1,1]
	s_waitcnt lgkmcnt(0)
	v_pk_mul_f32 v[14:15], v[6:7], v[10:11] op_sel_hi:[1,0]
	s_waitcnt vmcnt(2)
	v_pk_mul_f32 v[16:17], v[8:9], v[26:27] op_sel:[0,1]
	ds_read2_b64 v[10:13], v56 offset0:204 offset1:221
	v_pk_fma_f32 v[38:39], v[50:51], v[20:21], v[0:1] op_sel:[0,0,1] op_sel_hi:[1,1,0] neg_lo:[0,0,1] neg_hi:[0,0,1]
	v_pk_fma_f32 v[54:55], v[52:53], v[22:23], v[40:41] op_sel:[0,0,1] op_sel_hi:[1,1,0] neg_lo:[0,0,1] neg_hi:[0,0,1]
	;; [unrolled: 1-line block ×3, first 2 shown]
	v_pk_fma_f32 v[0:1], v[50:51], v[20:21], v[0:1] op_sel:[0,0,1] op_sel_hi:[1,0,0]
	v_pk_fma_f32 v[18:19], v[8:9], v[26:27], v[16:17] op_sel:[0,0,1] op_sel_hi:[1,0,0] neg_lo:[0,0,1] neg_hi:[0,0,1]
	v_pk_fma_f32 v[20:21], v[52:53], v[22:23], v[40:41] op_sel:[0,0,1] op_sel_hi:[1,0,0]
	v_pk_fma_f32 v[22:23], v[6:7], v[24:25], v[14:15] op_sel:[0,0,1] op_sel_hi:[1,0,0]
	;; [unrolled: 1-line block ×3, first 2 shown]
	ds_read2_b64 v[6:9], v56 offset0:238 offset1:255
	v_mov_b32_e32 v0, v29
	s_waitcnt lgkmcnt(1)
	v_pk_mul_f32 v[14:15], v[10:11], v[0:1] op_sel_hi:[1,0]
	s_waitcnt vmcnt(1)
	v_mov_b32_e32 v0, v33
	v_pk_fma_f32 v[16:17], v[10:11], v[28:29], v[14:15] op_sel:[0,0,1] op_sel_hi:[1,0,0] neg_lo:[0,0,1] neg_hi:[0,0,1]
	v_pk_mul_f32 v[26:27], v[12:13], v[30:31] op_sel:[0,1]
	v_pk_fma_f32 v[28:29], v[10:11], v[28:29], v[14:15] op_sel:[0,0,1] op_sel_hi:[1,0,0]
	s_waitcnt lgkmcnt(0)
	v_pk_mul_f32 v[10:11], v[6:7], v[0:1] op_sel_hi:[1,0]
	v_pk_fma_f32 v[40:41], v[12:13], v[30:31], v[26:27] op_sel:[0,0,1] op_sel_hi:[1,0,0] neg_lo:[0,0,1] neg_hi:[0,0,1]
	v_pk_fma_f32 v[26:27], v[12:13], v[30:31], v[26:27] op_sel:[0,0,1] op_sel_hi:[1,0,0]
	v_pk_fma_f32 v[30:31], v[6:7], v[32:33], v[10:11] op_sel:[0,0,1] op_sel_hi:[1,0,0] neg_lo:[0,0,1] neg_hi:[0,0,1]
	v_pk_fma_f32 v[14:15], v[6:7], v[32:33], v[10:11] op_sel:[0,0,1] op_sel_hi:[1,0,0]
	s_waitcnt vmcnt(0)
	v_pk_mul_f32 v[6:7], v[8:9], v[34:35] op_sel:[0,1]
	v_mov_b32_e32 v0, v37
	v_pk_fma_f32 v[32:33], v[8:9], v[34:35], v[6:7] op_sel:[0,0,1] op_sel_hi:[1,0,0] neg_lo:[0,0,1] neg_hi:[0,0,1]
	v_pk_fma_f32 v[12:13], v[8:9], v[34:35], v[6:7] op_sel:[0,0,1] op_sel_hi:[1,0,0]
	v_pk_mul_f32 v[6:7], v[2:3], v[0:1] op_sel_hi:[1,0]
	v_mov_b32_e32 v39, v1
	v_pk_fma_f32 v[34:35], v[2:3], v[36:37], v[6:7] op_sel:[0,0,1] op_sel_hi:[1,0,0] neg_lo:[0,0,1] neg_hi:[0,0,1]
	v_pk_fma_f32 v[2:3], v[2:3], v[36:37], v[6:7] op_sel:[0,0,1] op_sel_hi:[1,0,0]
	v_mov_b32_e32 v6, v42
	v_mov_b32_e32 v7, v58
	;; [unrolled: 1-line block ×3, first 2 shown]
	v_pk_add_f32 v[36:37], v[6:7], v[58:59] neg_lo:[0,1] neg_hi:[0,1]
	ds_read_b64 v[6:7], v228
	v_mov_b32_e32 v35, v3
	v_add_f32_e32 v9, v68, v3
	v_sub_f32_e32 v8, v68, v3
	v_mov_b32_e32 v33, v13
	s_waitcnt lgkmcnt(0)
	v_add_f32_e32 v0, v68, v7
	v_add_f32_e32 v1, v66, v6
	;; [unrolled: 1-line block ×5, first 2 shown]
	v_mov_b32_e32 v2, v27
	v_pk_add_f32 v[88:89], v[4:5], v[2:3] neg_lo:[0,1] neg_hi:[0,1]
	v_mov_b32_e32 v3, v4
	v_add_f32_e32 v11, v69, v13
	v_sub_f32_e32 v10, v69, v13
	v_mov_b32_e32 v31, v15
	v_add_f32_e32 v13, v70, v15
	v_sub_f32_e32 v12, v70, v15
	v_pk_add_f32 v[14:15], v[2:3], v[26:27]
	v_pk_add_f32 v[2:3], v[36:37], v[40:41] neg_lo:[0,1] neg_hi:[0,1]
	v_add_f32_e32 v1, v1, v4
	v_mov_b32_e32 v3, v16
	v_pk_add_f32 v[4:5], v[36:37], v[2:3] neg_lo:[0,1] neg_hi:[0,1]
	v_add_f32_e32 v0, v0, v72
	v_mov_b32_e32 v4, v37
	v_add_f32_e32 v0, v0, v36
	v_pk_add_f32 v[90:91], v[4:5], v[16:17]
	v_mov_b32_e32 v4, v29
	v_add_f32_e32 v0, v0, v37
	v_add_f32_e32 v1, v1, v44
	v_mov_b32_e32 v3, v44
	v_pk_add_f32 v[96:97], v[44:45], v[4:5] neg_lo:[0,1] neg_hi:[0,1]
	v_pk_add_f32 v[94:95], v[60:61], v[18:19]
	v_pk_add_f32 v[42:43], v[60:61], v[18:19] neg_lo:[0,1] neg_hi:[0,1]
	v_mov_b32_e32 v61, v46
	v_mov_b32_e32 v4, v25
	v_pk_add_f32 v[92:93], v[36:37], v[40:41]
	v_mov_b32_e32 v36, v16
	v_pk_add_f32 v[16:17], v[2:3], v[28:29]
	v_mov_b32_e32 v3, v46
	v_pk_add_f32 v[102:103], v[46:47], v[4:5] neg_lo:[0,1] neg_hi:[0,1]
	v_pk_add_f32 v[100:101], v[62:63], v[64:65]
	v_pk_add_f32 v[46:47], v[62:63], v[64:65] neg_lo:[0,1] neg_hi:[0,1]
	v_mov_b32_e32 v63, v48
	v_pk_add_f32 v[0:1], v[0:1], v[60:61]
	v_mov_b32_e32 v55, v21
	v_pk_add_f32 v[0:1], v[0:1], v[62:63]
	;; [unrolled: 2-line block ×3, first 2 shown]
	v_mov_b32_e32 v28, v18
	v_mov_b32_e32 v29, v25
	v_pk_add_f32 v[18:19], v[2:3], v[24:25]
	v_mov_b32_e32 v24, v64
	v_mov_b32_e32 v25, v23
	v_pk_add_f32 v[0:1], v[0:1], v[54:55]
	v_mov_b32_e32 v3, v48
	v_pk_add_f32 v[0:1], v[0:1], v[24:25]
	v_add_f32_e32 v142, v66, v34
	v_pk_add_f32 v[0:1], v[0:1], v[28:29]
	v_sub_f32_e32 v143, v66, v34
	v_mov_b32_e32 v26, v40
	v_pk_add_f32 v[20:21], v[2:3], v[22:23]
	v_mov_b32_e32 v4, v23
	v_pk_add_f32 v[0:1], v[0:1], v[36:37]
	v_pk_mul_f32 v[22:23], v[142:143], s[38:39]
	v_pk_add_f32 v[0:1], v[0:1], v[26:27]
	v_add_f32_e32 v140, v71, v32
	v_sub_f32_e32 v141, v71, v32
	v_pk_fma_f32 v[26:27], v[8:9], s[2:3], v[22:23] neg_lo:[1,0,0] neg_hi:[1,0,0]
	v_pk_fma_f32 v[24:25], v[8:9], s[2:3], v[22:23]
	v_accvgpr_write_b32 a2, v22
	v_pk_add_f32 v[0:1], v[0:1], v[30:31]
	v_accvgpr_write_b32 a3, v23
	v_mov_b32_e32 v27, v25
	v_pk_mul_f32 v[22:23], v[140:141], s[50:51]
	v_add_f32_e32 v116, v72, v30
	v_sub_f32_e32 v117, v72, v30
	v_pk_add_f32 v[0:1], v[0:1], v[32:33]
	v_pk_add_f32 v[30:31], v[26:27], v[6:7]
	v_pk_fma_f32 v[32:33], v[10:11], s[8:9], v[22:23] neg_lo:[1,0,0] neg_hi:[1,0,0]
	v_pk_fma_f32 v[26:27], v[10:11], s[8:9], v[22:23]
	v_accvgpr_write_b32 a4, v22
	v_accvgpr_write_b32 a5, v23
	v_mov_b32_e32 v33, v27
	v_pk_mul_f32 v[22:23], v[116:117], s[60:61]
	v_pk_add_f32 v[0:1], v[0:1], v[34:35]
	v_pk_add_f32 v[34:35], v[32:33], v[30:31]
	v_pk_fma_f32 v[36:37], v[12:13], s[10:11], v[22:23] neg_lo:[1,0,0] neg_hi:[1,0,0]
	v_pk_fma_f32 v[30:31], v[12:13], s[10:11], v[22:23]
	v_accvgpr_write_b32 a6, v22
	v_mov_b32_e32 v93, v2
	v_accvgpr_write_b32 a7, v23
	v_mov_b32_e32 v37, v31
	v_mov_b32_e32 v14, v88
	v_pk_mul_f32 v[22:23], v[92:93], s[48:49]
	v_pk_add_f32 v[108:109], v[38:39], v[54:55]
	v_pk_add_f32 v[52:53], v[38:39], v[54:55] neg_lo:[0,1] neg_hi:[0,1]
	v_pk_add_f32 v[38:39], v[36:37], v[34:35]
	v_pk_fma_f32 v[2:3], v[88:89], s[14:15], v[22:23] neg_lo:[1,0,0] neg_hi:[1,0,0]
	v_pk_fma_f32 v[34:35], v[14:15], s[14:15], v[22:23]
	v_accvgpr_write_b32 a8, v22
	v_mov_b32_e32 v91, v5
	v_accvgpr_write_b32 a9, v23
	v_mov_b32_e32 v3, v35
	v_mov_b32_e32 v16, v96
	v_pk_mul_f32 v[22:23], v[90:91], s[36:37]
	v_pk_add_f32 v[106:107], v[48:49], v[4:5] neg_lo:[0,1] neg_hi:[0,1]
	v_pk_add_f32 v[2:3], v[2:3], v[38:39]
	v_pk_fma_f32 v[4:5], v[96:97], s[16:17], v[22:23] neg_lo:[1,0,0] neg_hi:[1,0,0]
	v_pk_fma_f32 v[38:39], v[16:17], s[16:17], v[22:23]
	v_accvgpr_write_b32 a10, v22
	v_mov_b32_e32 v95, v42
	v_accvgpr_write_b32 a11, v23
	v_mov_b32_e32 v5, v39
	v_mov_b32_e32 v18, v102
	v_pk_mul_f32 v[22:23], v[94:95], s[40:41]
	v_pk_add_f32 v[2:3], v[4:5], v[2:3]
	v_pk_fma_f32 v[4:5], v[102:103], s[20:21], v[22:23] neg_lo:[1,0,0] neg_hi:[1,0,0]
	v_pk_fma_f32 v[42:43], v[18:19], s[20:21], v[22:23]
	v_accvgpr_write_b32 a12, v22
	v_mov_b32_e32 v101, v46
	v_accvgpr_write_b32 a13, v23
	v_mov_b32_e32 v5, v43
	v_mov_b32_e32 v20, v106
	v_pk_mul_f32 v[22:23], v[100:101], s[42:43]
	v_pk_add_f32 v[2:3], v[4:5], v[2:3]
	v_pk_fma_f32 v[4:5], v[106:107], s[22:23], v[22:23] neg_lo:[1,0,0] neg_hi:[1,0,0]
	v_pk_fma_f32 v[46:47], v[20:21], s[22:23], v[22:23]
	v_accvgpr_write_b32 a14, v22
	v_mov_b32_e32 v51, v109
	v_mov_b32_e32 v109, v52
	v_accvgpr_write_b32 a15, v23
	v_mov_b32_e32 v5, v47
	v_mov_b32_e32 v50, v53
	v_pk_mul_f32 v[22:23], v[108:109], s[54:55]
	v_pk_add_f32 v[2:3], v[4:5], v[2:3]
	v_pk_fma_f32 v[4:5], v[50:51], s[24:25], v[22:23] neg_lo:[1,0,0] neg_hi:[1,0,0]
	v_pk_fma_f32 v[52:53], v[50:51], s[24:25], v[22:23]
	s_nop 0
	v_mov_b32_e32 v5, v53
	v_pk_add_f32 v[2:3], v[4:5], v[2:3]
	s_barrier
	ds_write2_b64 v56, v[0:1], v[2:3] offset1:17
	v_pk_mul_f32 v[0:1], v[142:143], s[50:51]
	v_accvgpr_write_b32 a16, v22
	v_accvgpr_write_b32 a19, v1
	v_accvgpr_write_b32 a17, v23
	v_pk_fma_f32 v[2:3], v[8:9], s[8:9], v[0:1] neg_lo:[1,0,0] neg_hi:[1,0,0]
	v_pk_fma_f32 v[22:23], v[8:9], s[8:9], v[0:1]
	v_accvgpr_write_b32 a18, v0
	v_pk_mul_f32 v[0:1], v[140:141], s[48:49]
	v_mov_b32_e32 v3, v23
	v_pk_fma_f32 v[4:5], v[10:11], s[14:15], v[0:1] neg_lo:[1,0,0] neg_hi:[1,0,0]
	v_pk_fma_f32 v[58:59], v[10:11], s[14:15], v[0:1]
	v_accvgpr_write_b32 a21, v1
	v_accvgpr_write_b32 a20, v0
	v_mov_b32_e32 v5, v59
	v_pk_add_f32 v[2:3], v[2:3], v[6:7]
	v_pk_mul_f32 v[0:1], v[116:117], s[40:41]
	v_pk_add_f32 v[2:3], v[4:5], v[2:3]
	v_pk_fma_f32 v[4:5], v[12:13], s[20:21], v[0:1] neg_lo:[1,0,0] neg_hi:[1,0,0]
	v_pk_fma_f32 v[64:65], v[12:13], s[20:21], v[0:1]
	v_accvgpr_write_b32 a23, v1
	v_accvgpr_write_b32 a22, v0
	v_mov_b32_e32 v5, v65
	v_pk_mul_f32 v[0:1], v[92:93], s[54:55]
	v_pk_add_f32 v[2:3], v[4:5], v[2:3]
	v_pk_fma_f32 v[4:5], v[88:89], s[24:25], v[0:1] neg_lo:[1,0,0] neg_hi:[1,0,0]
	v_pk_fma_f32 v[66:67], v[14:15], s[24:25], v[0:1]
	v_accvgpr_write_b32 a25, v1
	v_accvgpr_write_b32 a24, v0
	v_mov_b32_e32 v5, v67
	v_pk_mul_f32 v[0:1], v[90:91], s[70:71]
	v_pk_add_f32 v[2:3], v[4:5], v[2:3]
	v_pk_fma_f32 v[4:5], v[96:97], s[26:27], v[0:1] neg_lo:[1,0,0] neg_hi:[1,0,0]
	v_pk_fma_f32 v[68:69], v[16:17], s[26:27], v[0:1]
	v_pk_mul_f32 v[80:81], v[94:95], s[68:69]
	v_mov_b32_e32 v5, v69
	v_pk_add_f32 v[2:3], v[4:5], v[2:3]
	v_pk_fma_f32 v[4:5], v[102:103], s[28:29], v[80:81] neg_lo:[1,0,0] neg_hi:[1,0,0]
	v_pk_fma_f32 v[70:71], v[18:19], s[28:29], v[80:81]
	v_pk_mul_f32 v[84:85], v[100:101], s[56:57]
	v_mov_b32_e32 v5, v71
	;; [unrolled: 5-line block ×5, first 2 shown]
	v_pk_fma_f32 v[114:115], v[10:11], s[20:21], v[112:113] neg_lo:[1,0,0] neg_hi:[1,0,0]
	v_pk_fma_f32 v[104:105], v[10:11], s[20:21], v[112:113]
	v_pk_add_f32 v[4:5], v[4:5], v[6:7]
	v_mov_b32_e32 v115, v105
	v_pk_mul_f32 v[126:127], v[116:117], s[76:77]
	v_pk_add_f32 v[4:5], v[114:115], v[4:5]
	v_pk_fma_f32 v[118:119], v[12:13], s[44:45], v[126:127] neg_lo:[1,0,0] neg_hi:[1,0,0]
	v_pk_fma_f32 v[114:115], v[12:13], s[44:45], v[126:127]
	v_pk_mul_f32 v[60:61], v[92:93], s[68:69]
	v_mov_b32_e32 v119, v115
	v_pk_add_f32 v[4:5], v[118:119], v[4:5]
	v_pk_fma_f32 v[120:121], v[88:89], s[28:29], v[60:61] neg_lo:[1,0,0] neg_hi:[1,0,0]
	v_pk_fma_f32 v[118:119], v[14:15], s[28:29], v[60:61]
	v_pk_mul_f32 v[54:55], v[90:91], s[64:65]
	v_mov_b32_e32 v121, v119
	;; [unrolled: 5-line block ×6, first 2 shown]
	v_pk_add_f32 v[4:5], v[144:145], v[4:5]
	ds_write2_b64 v56, v[2:3], v[4:5] offset0:34 offset1:51
	v_pk_fma_f32 v[2:3], v[8:9], s[14:15], v[148:149] neg_lo:[1,0,0] neg_hi:[1,0,0]
	v_pk_fma_f32 v[144:145], v[8:9], s[14:15], v[148:149]
	v_pk_mul_f32 v[150:151], v[140:141], s[54:55]
	v_mov_b32_e32 v3, v145
	v_pk_fma_f32 v[4:5], v[10:11], s[24:25], v[150:151] neg_lo:[1,0,0] neg_hi:[1,0,0]
	v_pk_fma_f32 v[146:147], v[10:11], s[24:25], v[150:151]
	v_pk_add_f32 v[2:3], v[2:3], v[6:7]
	v_mov_b32_e32 v5, v147
	v_pk_mul_f32 v[162:163], v[116:117], s[68:69]
	v_pk_add_f32 v[2:3], v[4:5], v[2:3]
	v_pk_fma_f32 v[4:5], v[12:13], s[28:29], v[162:163] neg_lo:[1,0,0] neg_hi:[1,0,0]
	v_pk_fma_f32 v[152:153], v[12:13], s[28:29], v[162:163]
	v_pk_mul_f32 v[48:49], v[92:93], s[62:63]
	v_mov_b32_e32 v5, v153
	v_pk_add_f32 v[2:3], v[4:5], v[2:3]
	v_pk_fma_f32 v[4:5], v[88:89], s[34:35], v[48:49] neg_lo:[1,0,0] neg_hi:[1,0,0]
	v_pk_fma_f32 v[154:155], v[14:15], s[34:35], v[48:49]
	v_pk_mul_f32 v[168:169], v[90:91], s[60:61]
	v_mov_b32_e32 v5, v155
	;; [unrolled: 5-line block ×7, first 2 shown]
	v_pk_fma_f32 v[184:185], v[10:11], s[26:27], v[182:183] neg_lo:[1,0,0] neg_hi:[1,0,0]
	v_pk_fma_f32 v[178:179], v[10:11], s[26:27], v[182:183]
	v_pk_add_f32 v[4:5], v[4:5], v[6:7]
	v_mov_b32_e32 v185, v179
	v_pk_mul_f32 v[36:37], v[116:117], s[64:65]
	v_pk_add_f32 v[4:5], v[184:185], v[4:5]
	v_pk_fma_f32 v[186:187], v[12:13], s[46:47], v[36:37] neg_lo:[1,0,0] neg_hi:[1,0,0]
	v_pk_fma_f32 v[184:185], v[12:13], s[46:47], v[36:37]
	v_pk_mul_f32 v[32:33], v[92:93], s[60:61]
	v_mov_b32_e32 v187, v185
	v_pk_add_f32 v[4:5], v[186:187], v[4:5]
	v_pk_fma_f32 v[188:189], v[88:89], s[10:11], v[32:33] neg_lo:[1,0,0] neg_hi:[1,0,0]
	v_pk_fma_f32 v[186:187], v[14:15], s[10:11], v[32:33]
	v_pk_mul_f32 v[200:201], v[90:91], s[54:55]
	v_mov_b32_e32 v189, v187
	;; [unrolled: 5-line block ×6, first 2 shown]
	v_pk_add_f32 v[4:5], v[208:209], v[4:5]
	ds_write2_b64 v56, v[2:3], v[4:5] offset0:68 offset1:85
	v_pk_fma_f32 v[2:3], v[8:9], s[20:21], v[212:213] neg_lo:[1,0,0] neg_hi:[1,0,0]
	v_pk_fma_f32 v[208:209], v[8:9], s[20:21], v[212:213]
	v_pk_mul_f32 v[214:215], v[140:141], s[68:69]
	v_mov_b32_e32 v3, v209
	v_pk_fma_f32 v[4:5], v[10:11], s[28:29], v[214:215] neg_lo:[1,0,0] neg_hi:[1,0,0]
	v_pk_fma_f32 v[210:211], v[10:11], s[28:29], v[214:215]
	v_pk_add_f32 v[2:3], v[2:3], v[6:7]
	v_mov_b32_e32 v5, v211
	v_pk_add_f32 v[2:3], v[4:5], v[2:3]
	v_pk_mul_f32 v[4:5], v[116:117], s[38:39]
	v_pk_mul_f32 v[220:221], v[92:93], s[42:43]
	v_pk_fma_f32 v[218:219], v[12:13], s[2:3], v[4:5] neg_lo:[1,0,0] neg_hi:[1,0,0]
	v_pk_fma_f32 v[216:217], v[12:13], s[2:3], v[4:5]
	v_pk_fma_f32 v[222:223], v[88:89], s[22:23], v[220:221] neg_lo:[1,0,0] neg_hi:[1,0,0]
	v_mov_b32_e32 v219, v217
	v_pk_add_f32 v[2:3], v[218:219], v[2:3]
	v_pk_fma_f32 v[218:219], v[14:15], s[22:23], v[220:221]
	v_pk_mul_f32 v[246:247], v[140:141], s[56:57]
	v_mov_b32_e32 v223, v219
	v_pk_add_f32 v[2:3], v[222:223], v[2:3]
	v_pk_mul_f32 v[222:223], v[90:91], s[72:73]
	v_pk_fma_f32 v[248:249], v[10:11], s[30:31], v[246:247] neg_lo:[1,0,0] neg_hi:[1,0,0]
	v_pk_fma_f32 v[224:225], v[96:97], s[66:67], v[222:223] neg_lo:[1,0,0] neg_hi:[1,0,0]
	v_pk_fma_f32 v[226:227], v[16:17], s[66:67], v[222:223]
	v_pk_fma_f32 v[250:251], v[10:11], s[30:31], v[246:247]
	v_mov_b32_e32 v225, v227
	v_pk_add_f32 v[2:3], v[224:225], v[2:3]
	v_pk_mul_f32 v[224:225], v[94:95], s[50:51]
	v_mov_b32_e32 v249, v251
	v_pk_fma_f32 v[230:231], v[102:103], s[8:9], v[224:225] neg_lo:[1,0,0] neg_hi:[1,0,0]
	v_pk_fma_f32 v[232:233], v[18:19], s[8:9], v[224:225]
	v_accvgpr_write_b32 a27, v1
	v_mov_b32_e32 v231, v233
	v_pk_add_f32 v[2:3], v[230:231], v[2:3]
	v_pk_mul_f32 v[230:231], v[100:101], s[54:55]
	v_accvgpr_write_b32 a26, v0
	v_pk_fma_f32 v[234:235], v[106:107], s[24:25], v[230:231] neg_lo:[1,0,0] neg_hi:[1,0,0]
	v_pk_fma_f32 v[236:237], v[20:21], s[24:25], v[230:231]
	v_pk_mul_f32 v[140:141], v[140:141], s[62:63]
	v_mov_b32_e32 v235, v237
	v_pk_add_f32 v[2:3], v[234:235], v[2:3]
	v_pk_mul_f32 v[234:235], v[108:109], s[56:57]
	v_pk_fma_f32 v[76:77], v[10:11], s[34:35], v[140:141]
	v_pk_fma_f32 v[238:239], v[50:51], s[30:31], v[234:235] neg_lo:[1,0,0] neg_hi:[1,0,0]
	v_pk_fma_f32 v[240:241], v[50:51], s[30:31], v[234:235]
	s_nop 0
	v_mov_b32_e32 v239, v241
	v_pk_add_f32 v[2:3], v[238:239], v[2:3]
	v_pk_mul_f32 v[238:239], v[142:143], s[42:43]
	s_nop 0
	v_pk_fma_f32 v[242:243], v[8:9], s[22:23], v[238:239] neg_lo:[1,0,0] neg_hi:[1,0,0]
	v_pk_fma_f32 v[244:245], v[8:9], s[22:23], v[238:239]
	s_nop 0
	v_mov_b32_e32 v243, v245
	v_pk_add_f32 v[242:243], v[242:243], v[6:7]
	s_nop 0
	v_pk_add_f32 v[242:243], v[248:249], v[242:243]
	v_pk_mul_f32 v[248:249], v[116:117], s[48:49]
	v_pk_mul_f32 v[116:117], v[116:117], s[42:43]
	v_pk_fma_f32 v[252:253], v[12:13], s[14:15], v[248:249] neg_lo:[1,0,0] neg_hi:[1,0,0]
	v_pk_fma_f32 v[254:255], v[12:13], s[14:15], v[248:249]
	v_pk_fma_f32 v[194:195], v[12:13], s[22:23], v[116:117]
	v_mov_b32_e32 v253, v255
	v_pk_add_f32 v[242:243], v[252:253], v[242:243]
	v_pk_mul_f32 v[252:253], v[92:93], s[74:75]
	v_pk_mul_f32 v[92:93], v[92:93], s[64:65]
	v_pk_fma_f32 v[0:1], v[88:89], s[58:59], v[252:253] neg_lo:[1,0,0] neg_hi:[1,0,0]
	v_pk_fma_f32 v[228:229], v[14:15], s[58:59], v[252:253]
	v_pk_fma_f32 v[88:89], v[88:89], s[46:47], v[92:93] neg_lo:[1,0,0] neg_hi:[1,0,0]
	v_mov_b32_e32 v1, v229
	v_pk_add_f32 v[0:1], v[0:1], v[242:243]
	v_pk_mul_f32 v[242:243], v[90:91], s[38:39]
	s_nop 0
	v_pk_fma_f32 v[110:111], v[96:97], s[2:3], v[242:243] neg_lo:[1,0,0] neg_hi:[1,0,0]
	v_pk_fma_f32 v[128:129], v[16:17], s[2:3], v[242:243]
	s_nop 0
	v_mov_b32_e32 v111, v129
	v_pk_add_f32 v[0:1], v[110:111], v[0:1]
	v_pk_mul_f32 v[110:111], v[94:95], s[54:55]
	s_nop 0
	v_pk_fma_f32 v[132:133], v[102:103], s[24:25], v[110:111] neg_lo:[1,0,0] neg_hi:[1,0,0]
	v_pk_fma_f32 v[164:165], v[18:19], s[24:25], v[110:111]
	s_nop 0
	;; [unrolled: 7-line block ×4, first 2 shown]
	v_mov_b32_e32 v87, v83
	v_pk_add_f32 v[0:1], v[86:87], v[0:1]
	ds_write2_b64 v56, v[2:3], v[0:1] offset0:102 offset1:119
	v_pk_mul_f32 v[0:1], v[142:143], s[54:55]
	v_pk_fma_f32 v[142:143], v[10:11], s[34:35], v[140:141] neg_lo:[1,0,0] neg_hi:[1,0,0]
	v_pk_fma_f32 v[2:3], v[8:9], s[24:25], v[0:1] neg_lo:[1,0,0] neg_hi:[1,0,0]
	v_pk_fma_f32 v[86:87], v[8:9], s[24:25], v[0:1]
	v_mov_b32_e32 v143, v77
	v_mov_b32_e32 v3, v87
	v_pk_add_f32 v[2:3], v[2:3], v[6:7]
	v_pk_fma_f32 v[0:1], v[8:9], s[24:25], v[0:1] neg_lo:[0,0,1] neg_hi:[0,0,1]
	v_pk_add_f32 v[2:3], v[142:143], v[2:3]
	v_pk_fma_f32 v[142:143], v[12:13], s[22:23], v[116:117] neg_lo:[1,0,0] neg_hi:[1,0,0]
	v_mov_b32_e32 v87, v1
	v_mov_b32_e32 v143, v195
	v_pk_add_f32 v[2:3], v[142:143], v[2:3]
	v_pk_fma_f32 v[142:143], v[14:15], s[46:47], v[92:93]
	v_pk_fma_f32 v[0:1], v[10:11], s[34:35], v[140:141] neg_lo:[0,0,1] neg_hi:[0,0,1]
	v_mov_b32_e32 v89, v143
	v_pk_add_f32 v[2:3], v[88:89], v[2:3]
	v_pk_mul_f32 v[88:89], v[90:91], s[40:41]
	v_mov_b32_e32 v77, v1
	v_pk_fma_f32 v[90:91], v[96:97], s[20:21], v[88:89] neg_lo:[1,0,0] neg_hi:[1,0,0]
	v_pk_fma_f32 v[96:97], v[16:17], s[20:21], v[88:89]
	v_pk_fma_f32 v[0:1], v[12:13], s[22:23], v[116:117] neg_lo:[0,0,1] neg_hi:[0,0,1]
	v_mov_b32_e32 v91, v97
	v_pk_add_f32 v[2:3], v[90:91], v[2:3]
	v_pk_mul_f32 v[90:91], v[94:95], s[56:57]
	v_mov_b32_e32 v195, v1
	v_pk_fma_f32 v[94:95], v[102:103], s[30:31], v[90:91] neg_lo:[1,0,0] neg_hi:[1,0,0]
	;; [unrolled: 7-line block ×3, first 2 shown]
	v_pk_fma_f32 v[106:107], v[20:21], s[16:17], v[94:95]
	v_pk_fma_f32 v[0:1], v[16:17], s[20:21], v[88:89] neg_lo:[0,0,1] neg_hi:[0,0,1]
	v_mov_b32_e32 v101, v107
	v_mov_b32_e32 v97, v1
	v_pk_fma_f32 v[0:1], v[18:19], s[30:31], v[90:91] neg_lo:[0,0,1] neg_hi:[0,0,1]
	v_pk_add_f32 v[2:3], v[100:101], v[2:3]
	v_pk_mul_f32 v[100:101], v[108:109], s[72:73]
	v_mov_b32_e32 v103, v1
	v_pk_fma_f32 v[0:1], v[20:21], s[16:17], v[94:95] neg_lo:[0,0,1] neg_hi:[0,0,1]
	v_pk_fma_f32 v[108:109], v[50:51], s[66:67], v[100:101] neg_lo:[1,0,0] neg_hi:[1,0,0]
	v_pk_fma_f32 v[196:197], v[50:51], s[66:67], v[100:101]
	v_mov_b32_e32 v107, v1
	v_pk_fma_f32 v[0:1], v[50:51], s[66:67], v[100:101] neg_lo:[0,0,1] neg_hi:[0,0,1]
	v_mov_b32_e32 v109, v197
	v_mov_b32_e32 v197, v1
	v_pk_add_f32 v[0:1], v[86:87], v[6:7]
	v_pk_add_f32 v[2:3], v[108:109], v[2:3]
	;; [unrolled: 1-line block ×3, first 2 shown]
	s_nop 0
	v_pk_add_f32 v[0:1], v[194:195], v[0:1]
	s_nop 0
	v_pk_add_f32 v[0:1], v[142:143], v[0:1]
	;; [unrolled: 2-line block ×6, first 2 shown]
	ds_write2_b64 v56, v[2:3], v[0:1] offset0:136 offset1:153
	v_pk_fma_f32 v[0:1], v[8:9], s[22:23], v[238:239] neg_lo:[0,0,1] neg_hi:[0,0,1]
	v_pk_fma_f32 v[2:3], v[8:9], s[20:21], v[212:213] neg_lo:[0,0,1] neg_hi:[0,0,1]
	v_mov_b32_e32 v245, v1
	v_pk_fma_f32 v[0:1], v[10:11], s[30:31], v[246:247] neg_lo:[0,0,1] neg_hi:[0,0,1]
	v_mov_b32_e32 v209, v3
	;; [unrolled: 2-line block ×15, first 2 shown]
	v_pk_add_f32 v[0:1], v[244:245], v[6:7]
	v_mov_b32_e32 v241, v3
	v_pk_add_f32 v[2:3], v[208:209], v[6:7]
	v_pk_add_f32 v[0:1], v[250:251], v[0:1]
	;; [unrolled: 1-line block ×15, first 2 shown]
	ds_write2_b64 v56, v[0:1], v[2:3] offset0:170 offset1:187
	v_pk_fma_f32 v[0:1], v[8:9], s[16:17], v[180:181] neg_lo:[0,0,1] neg_hi:[0,0,1]
	v_pk_fma_f32 v[2:3], v[8:9], s[14:15], v[148:149] neg_lo:[0,0,1] neg_hi:[0,0,1]
	v_mov_b32_e32 v177, v1
	v_pk_fma_f32 v[0:1], v[10:11], s[26:27], v[182:183] neg_lo:[0,0,1] neg_hi:[0,0,1]
	v_mov_b32_e32 v145, v3
	;; [unrolled: 2-line block ×15, first 2 shown]
	v_pk_add_f32 v[0:1], v[176:177], v[6:7]
	v_mov_b32_e32 v167, v3
	v_pk_add_f32 v[2:3], v[144:145], v[6:7]
	v_pk_add_f32 v[0:1], v[178:179], v[0:1]
	;; [unrolled: 1-line block ×15, first 2 shown]
	ds_write2_b64 v56, v[0:1], v[2:3] offset0:204 offset1:221
	v_accvgpr_read_b32 v2, a18
	v_accvgpr_read_b32 v3, a19
	v_pk_fma_f32 v[2:3], v[8:9], s[8:9], v[2:3] neg_lo:[0,0,1] neg_hi:[0,0,1]
	v_pk_fma_f32 v[0:1], v[8:9], s[10:11], v[62:63] neg_lo:[0,0,1] neg_hi:[0,0,1]
	v_mov_b32_e32 v23, v3
	v_accvgpr_read_b32 v2, a20
	v_accvgpr_read_b32 v3, a21
	v_pk_fma_f32 v[2:3], v[10:11], s[14:15], v[2:3] neg_lo:[0,0,1] neg_hi:[0,0,1]
	v_mov_b32_e32 v99, v1
	v_mov_b32_e32 v59, v3
	v_accvgpr_read_b32 v2, a22
	v_accvgpr_read_b32 v3, a23
	v_pk_fma_f32 v[2:3], v[12:13], s[20:21], v[2:3] neg_lo:[0,0,1] neg_hi:[0,0,1]
	v_pk_fma_f32 v[0:1], v[10:11], s[20:21], v[112:113] neg_lo:[0,0,1] neg_hi:[0,0,1]
	v_mov_b32_e32 v65, v3
	v_accvgpr_read_b32 v2, a24
	v_accvgpr_read_b32 v3, a25
	v_pk_fma_f32 v[2:3], v[14:15], s[24:25], v[2:3] neg_lo:[0,0,1] neg_hi:[0,0,1]
	v_mov_b32_e32 v105, v1
	v_pk_fma_f32 v[0:1], v[12:13], s[44:45], v[126:127] neg_lo:[0,0,1] neg_hi:[0,0,1]
	v_mov_b32_e32 v67, v3
	v_accvgpr_read_b32 v2, a26
	v_mov_b32_e32 v115, v1
	v_pk_fma_f32 v[0:1], v[14:15], s[28:29], v[60:61] neg_lo:[0,0,1] neg_hi:[0,0,1]
	v_accvgpr_read_b32 v3, a27
	v_mov_b32_e32 v119, v1
	v_pk_fma_f32 v[0:1], v[16:17], s[46:47], v[54:55] neg_lo:[0,0,1] neg_hi:[0,0,1]
	v_pk_fma_f32 v[2:3], v[16:17], s[26:27], v[2:3] neg_lo:[0,0,1] neg_hi:[0,0,1]
	v_mov_b32_e32 v121, v1
	v_pk_fma_f32 v[0:1], v[18:19], s[2:3], v[134:135] neg_lo:[0,0,1] neg_hi:[0,0,1]
	v_mov_b32_e32 v69, v3
	;; [unrolled: 2-line block ×7, first 2 shown]
	v_pk_add_f32 v[0:1], v[98:99], v[6:7]
	v_mov_b32_e32 v79, v3
	v_pk_add_f32 v[2:3], v[22:23], v[6:7]
	v_pk_add_f32 v[0:1], v[104:105], v[0:1]
	;; [unrolled: 1-line block ×15, first 2 shown]
	v_accvgpr_read_b32 v4, a1
	ds_write2_b64 v56, v[0:1], v[2:3] offset0:238 offset1:255
	v_mul_lo_u32 v2, s5, v4
	v_mul_hi_u32 v3, s4, v4
	v_add_u32_e32 v3, v3, v2
	v_mul_lo_u32 v2, s4, v4
	v_accvgpr_read_b32 v5, a3
	v_accvgpr_read_b32 v4, a2
	v_pk_fma_f32 v[4:5], v[8:9], s[2:3], v[4:5] neg_lo:[0,0,1] neg_hi:[0,0,1]
	v_accvgpr_read_b32 v0, a0
	v_mov_b32_e32 v25, v5
	v_pk_add_f32 v[4:5], v[24:25], v[6:7]
	v_accvgpr_read_b32 v7, a5
	v_accvgpr_read_b32 v6, a4
	v_pk_fma_f32 v[6:7], v[10:11], s[8:9], v[6:7] neg_lo:[0,0,1] neg_hi:[0,0,1]
	v_mul_lo_u32 v0, v0, s18
	v_mov_b32_e32 v27, v7
	v_accvgpr_read_b32 v6, a6
	v_accvgpr_read_b32 v7, a7
	v_pk_fma_f32 v[6:7], v[12:13], s[10:11], v[6:7] neg_lo:[0,0,1] neg_hi:[0,0,1]
	v_pk_add_f32 v[4:5], v[26:27], v[4:5]
	v_mov_b32_e32 v31, v7
	v_accvgpr_read_b32 v6, a8
	v_accvgpr_read_b32 v7, a9
	v_pk_fma_f32 v[6:7], v[14:15], s[14:15], v[6:7] neg_lo:[0,0,1] neg_hi:[0,0,1]
	v_pk_add_f32 v[4:5], v[30:31], v[4:5]
	;; [unrolled: 5-line block ×6, first 2 shown]
	v_mov_b32_e32 v53, v7
	v_pk_add_f32 v[4:5], v[52:53], v[4:5]
	ds_write_b64 v56, v[4:5] offset:2176
	v_mul_u32_u24_e32 v4, 0x2493, v206
	v_lshrrev_b32_e32 v8, 16, v4
	v_mul_lo_u16_e32 v4, 7, v8
	v_sub_u16_e32 v9, v206, v4
	v_mad_u64_u32 v[4:5], s[2:3], s4, v9, 0
	v_mov_b32_e32 v6, v5
	v_mad_u64_u32 v[6:7], s[2:3], s5, v9, v[6:7]
	v_mov_b32_e32 v1, v57
	v_mov_b32_e32 v5, v6
	v_mul_lo_u16_e32 v6, 0x121, v9
	v_lshlrev_b64 v[2:3], 3, v[2:3]
	v_lshlrev_b32_e32 v6, 3, v6
	v_lshlrev_b32_e32 v7, 3, v8
	v_lshl_add_u64 v[2:3], s[12:13], 0, v[2:3]
	v_lshlrev_b64 v[0:1], 3, v[0:1]
	v_mul_lo_u32 v56, s6, v8
	v_add3_u32 v8, 0, v6, v7
	v_lshl_add_u64 v[0:1], v[2:3], 0, v[0:1]
	s_waitcnt lgkmcnt(0)
	s_barrier
	v_lshl_add_u64 v[0:1], v[0:1], 0, s[0:1]
	ds_read_b64 v[2:3], v8
	v_add3_u32 v12, 0, v7, v6
	v_lshl_add_u64 v[0:1], v[4:5], 3, v[0:1]
	ds_read2_b64 v[4:7], v12 offset0:17 offset1:34
	s_mul_i32 s0, s6, 17
	v_lshl_add_u64 v[8:9], v[56:57], 3, v[0:1]
	v_add_u32_e32 v56, s0, v56
	s_waitcnt lgkmcnt(1)
	global_store_dwordx2 v[8:9], v[2:3], off
	v_lshl_add_u64 v[2:3], v[56:57], 3, v[0:1]
	v_add_u32_e32 v56, s0, v56
	ds_read2_b64 v[8:11], v12 offset0:51 offset1:68
	s_waitcnt lgkmcnt(1)
	global_store_dwordx2 v[2:3], v[4:5], off
	v_lshl_add_u64 v[2:3], v[56:57], 3, v[0:1]
	global_store_dwordx2 v[2:3], v[6:7], off
	ds_read2_b64 v[4:7], v12 offset0:85 offset1:102
	v_add_u32_e32 v56, s0, v56
	v_lshl_add_u64 v[2:3], v[56:57], 3, v[0:1]
	v_add_u32_e32 v56, s0, v56
	s_waitcnt lgkmcnt(1)
	global_store_dwordx2 v[2:3], v[8:9], off
	v_lshl_add_u64 v[2:3], v[56:57], 3, v[0:1]
	v_add_u32_e32 v56, s0, v56
	global_store_dwordx2 v[2:3], v[10:11], off
	v_lshl_add_u64 v[2:3], v[56:57], 3, v[0:1]
	v_add_u32_e32 v56, s0, v56
	ds_read2_b64 v[8:11], v12 offset0:119 offset1:136
	s_waitcnt lgkmcnt(1)
	global_store_dwordx2 v[2:3], v[4:5], off
	v_lshl_add_u64 v[2:3], v[56:57], 3, v[0:1]
	global_store_dwordx2 v[2:3], v[6:7], off
	ds_read2_b64 v[4:7], v12 offset0:153 offset1:170
	v_add_u32_e32 v56, s0, v56
	v_lshl_add_u64 v[2:3], v[56:57], 3, v[0:1]
	v_add_u32_e32 v56, s0, v56
	s_waitcnt lgkmcnt(1)
	global_store_dwordx2 v[2:3], v[8:9], off
	v_lshl_add_u64 v[2:3], v[56:57], 3, v[0:1]
	v_add_u32_e32 v56, s0, v56
	;; [unrolled: 16-line block ×3, first 2 shown]
	global_store_dwordx2 v[2:3], v[10:11], off
	v_lshl_add_u64 v[2:3], v[56:57], 3, v[0:1]
	s_waitcnt lgkmcnt(0)
	global_store_dwordx2 v[2:3], v[4:5], off
	v_add_u32_e32 v2, 0x400, v12
	ds_read2_b64 v[8:11], v2 offset0:127 offset1:144
	v_add_u32_e32 v56, s0, v56
	v_lshl_add_u64 v[2:3], v[56:57], 3, v[0:1]
	v_add_u32_e32 v56, s0, v56
	global_store_dwordx2 v[2:3], v[6:7], off
	v_lshl_add_u64 v[2:3], v[56:57], 3, v[0:1]
	v_add_u32_e32 v56, s0, v56
	v_lshl_add_u64 v[0:1], v[56:57], 3, v[0:1]
	s_waitcnt lgkmcnt(0)
	global_store_dwordx2 v[2:3], v[8:9], off
	global_store_dwordx2 v[0:1], v[10:11], off
	s_endpgm
	.section	.rodata,"a",@progbits
	.p2align	6, 0x0
	.amdhsa_kernel fft_rtc_fwd_len289_factors_17_17_wgs_119_tpt_17_sp_op_CI_CI_sbrc_xy_z_aligned
		.amdhsa_group_segment_fixed_size 0
		.amdhsa_private_segment_fixed_size 0
		.amdhsa_kernarg_size 104
		.amdhsa_user_sgpr_count 2
		.amdhsa_user_sgpr_dispatch_ptr 0
		.amdhsa_user_sgpr_queue_ptr 0
		.amdhsa_user_sgpr_kernarg_segment_ptr 1
		.amdhsa_user_sgpr_dispatch_id 0
		.amdhsa_user_sgpr_kernarg_preload_length 0
		.amdhsa_user_sgpr_kernarg_preload_offset 0
		.amdhsa_user_sgpr_private_segment_size 0
		.amdhsa_uses_dynamic_stack 0
		.amdhsa_enable_private_segment 0
		.amdhsa_system_sgpr_workgroup_id_x 1
		.amdhsa_system_sgpr_workgroup_id_y 0
		.amdhsa_system_sgpr_workgroup_id_z 0
		.amdhsa_system_sgpr_workgroup_info 0
		.amdhsa_system_vgpr_workitem_id 0
		.amdhsa_next_free_vgpr 286
		.amdhsa_next_free_sgpr 78
		.amdhsa_accum_offset 256
		.amdhsa_reserve_vcc 1
		.amdhsa_float_round_mode_32 0
		.amdhsa_float_round_mode_16_64 0
		.amdhsa_float_denorm_mode_32 3
		.amdhsa_float_denorm_mode_16_64 3
		.amdhsa_dx10_clamp 1
		.amdhsa_ieee_mode 1
		.amdhsa_fp16_overflow 0
		.amdhsa_tg_split 0
		.amdhsa_exception_fp_ieee_invalid_op 0
		.amdhsa_exception_fp_denorm_src 0
		.amdhsa_exception_fp_ieee_div_zero 0
		.amdhsa_exception_fp_ieee_overflow 0
		.amdhsa_exception_fp_ieee_underflow 0
		.amdhsa_exception_fp_ieee_inexact 0
		.amdhsa_exception_int_div_zero 0
	.end_amdhsa_kernel
	.text
.Lfunc_end0:
	.size	fft_rtc_fwd_len289_factors_17_17_wgs_119_tpt_17_sp_op_CI_CI_sbrc_xy_z_aligned, .Lfunc_end0-fft_rtc_fwd_len289_factors_17_17_wgs_119_tpt_17_sp_op_CI_CI_sbrc_xy_z_aligned
                                        ; -- End function
	.section	.AMDGPU.csdata,"",@progbits
; Kernel info:
; codeLenInByte = 13208
; NumSgprs: 84
; NumVgprs: 256
; NumAgprs: 30
; TotalNumVgprs: 286
; ScratchSize: 0
; MemoryBound: 0
; FloatMode: 240
; IeeeMode: 1
; LDSByteSize: 0 bytes/workgroup (compile time only)
; SGPRBlocks: 10
; VGPRBlocks: 35
; NumSGPRsForWavesPerEU: 84
; NumVGPRsForWavesPerEU: 286
; AccumOffset: 256
; Occupancy: 1
; WaveLimiterHint : 1
; COMPUTE_PGM_RSRC2:SCRATCH_EN: 0
; COMPUTE_PGM_RSRC2:USER_SGPR: 2
; COMPUTE_PGM_RSRC2:TRAP_HANDLER: 0
; COMPUTE_PGM_RSRC2:TGID_X_EN: 1
; COMPUTE_PGM_RSRC2:TGID_Y_EN: 0
; COMPUTE_PGM_RSRC2:TGID_Z_EN: 0
; COMPUTE_PGM_RSRC2:TIDIG_COMP_CNT: 0
; COMPUTE_PGM_RSRC3_GFX90A:ACCUM_OFFSET: 63
; COMPUTE_PGM_RSRC3_GFX90A:TG_SPLIT: 0
	.text
	.p2alignl 6, 3212836864
	.fill 256, 4, 3212836864
	.type	__hip_cuid_e03b669a9b2b23ca,@object ; @__hip_cuid_e03b669a9b2b23ca
	.section	.bss,"aw",@nobits
	.globl	__hip_cuid_e03b669a9b2b23ca
__hip_cuid_e03b669a9b2b23ca:
	.byte	0                               ; 0x0
	.size	__hip_cuid_e03b669a9b2b23ca, 1

	.ident	"AMD clang version 19.0.0git (https://github.com/RadeonOpenCompute/llvm-project roc-6.4.0 25133 c7fe45cf4b819c5991fe208aaa96edf142730f1d)"
	.section	".note.GNU-stack","",@progbits
	.addrsig
	.addrsig_sym __hip_cuid_e03b669a9b2b23ca
	.amdgpu_metadata
---
amdhsa.kernels:
  - .agpr_count:     30
    .args:
      - .actual_access:  read_only
        .address_space:  global
        .offset:         0
        .size:           8
        .value_kind:     global_buffer
      - .offset:         8
        .size:           8
        .value_kind:     by_value
      - .actual_access:  read_only
        .address_space:  global
        .offset:         16
        .size:           8
        .value_kind:     global_buffer
      - .actual_access:  read_only
        .address_space:  global
        .offset:         24
        .size:           8
        .value_kind:     global_buffer
      - .actual_access:  read_only
        .address_space:  global
        .offset:         32
        .size:           8
        .value_kind:     global_buffer
      - .offset:         40
        .size:           8
        .value_kind:     by_value
      - .actual_access:  read_only
        .address_space:  global
        .offset:         48
        .size:           8
        .value_kind:     global_buffer
      - .actual_access:  read_only
        .address_space:  global
        .offset:         56
        .size:           8
        .value_kind:     global_buffer
      - .offset:         64
        .size:           4
        .value_kind:     by_value
      - .actual_access:  read_only
        .address_space:  global
        .offset:         72
        .size:           8
        .value_kind:     global_buffer
      - .actual_access:  read_only
        .address_space:  global
        .offset:         80
        .size:           8
        .value_kind:     global_buffer
      - .actual_access:  read_only
        .address_space:  global
        .offset:         88
        .size:           8
        .value_kind:     global_buffer
      - .actual_access:  write_only
        .address_space:  global
        .offset:         96
        .size:           8
        .value_kind:     global_buffer
    .group_segment_fixed_size: 0
    .kernarg_segment_align: 8
    .kernarg_segment_size: 104
    .language:       OpenCL C
    .language_version:
      - 2
      - 0
    .max_flat_workgroup_size: 119
    .name:           fft_rtc_fwd_len289_factors_17_17_wgs_119_tpt_17_sp_op_CI_CI_sbrc_xy_z_aligned
    .private_segment_fixed_size: 0
    .sgpr_count:     84
    .sgpr_spill_count: 0
    .symbol:         fft_rtc_fwd_len289_factors_17_17_wgs_119_tpt_17_sp_op_CI_CI_sbrc_xy_z_aligned.kd
    .uniform_work_group_size: 1
    .uses_dynamic_stack: false
    .vgpr_count:     286
    .vgpr_spill_count: 0
    .wavefront_size: 64
amdhsa.target:   amdgcn-amd-amdhsa--gfx950
amdhsa.version:
  - 1
  - 2
...

	.end_amdgpu_metadata
